;; amdgpu-corpus repo=ROCm/rocBLAS kind=compiled arch=gfx1250 opt=O3
	.amdgcn_target "amdgcn-amd-amdhsa--gfx1250"
	.amdhsa_code_object_version 6
	.section	.text._ZL18rocblas_trtri_fillILi128EfPfEvP15_rocblas_handle13rocblas_fill_ililT1_llii,"axG",@progbits,_ZL18rocblas_trtri_fillILi128EfPfEvP15_rocblas_handle13rocblas_fill_ililT1_llii,comdat
	.globl	_ZL18rocblas_trtri_fillILi128EfPfEvP15_rocblas_handle13rocblas_fill_ililT1_llii ; -- Begin function _ZL18rocblas_trtri_fillILi128EfPfEvP15_rocblas_handle13rocblas_fill_ililT1_llii
	.p2align	8
	.type	_ZL18rocblas_trtri_fillILi128EfPfEvP15_rocblas_handle13rocblas_fill_ililT1_llii,@function
_ZL18rocblas_trtri_fillILi128EfPfEvP15_rocblas_handle13rocblas_fill_ililT1_llii: ; @_ZL18rocblas_trtri_fillILi128EfPfEvP15_rocblas_handle13rocblas_fill_ililT1_llii
; %bb.0:
	s_load_b64 s[2:3], s[0:1], 0x40
	s_bfe_u32 s4, ttmp6, 0x40014
	s_lshr_b32 s5, ttmp7, 16
	s_add_co_i32 s4, s4, 1
	s_bfe_u32 s6, ttmp6, 0x40008
	s_mul_i32 s4, s5, s4
	s_getreg_b32 s17, hwreg(HW_REG_IB_STS2, 6, 4)
	s_add_co_i32 s6, s6, s4
	s_cmp_eq_u32 s17, 0
	s_mov_b32 s19, 0
	s_cselect_b32 s16, s5, s6
	s_wait_kmcnt 0x0
	s_cmp_ge_u32 s16, s3
	s_cbranch_scc1 .LBB0_17
; %bb.1:
	s_clause 0x2
	s_load_b32 s20, s[0:1], 0x18
	s_load_b128 s[12:15], s[0:1], 0x8
	s_load_b256 s[4:11], s[0:1], 0x20
	s_ashr_i32 s23, s2, 31
	s_mov_b32 s22, s2
	s_bfe_u32 s2, ttmp6, 0x4000c
	s_and_b32 s18, ttmp6, 15
	s_add_co_i32 s2, s2, 1
	s_mov_b64 s[28:29], 0xffffffff
	s_mul_i32 s2, ttmp9, s2
	s_add_nc_u64 s[34:35], s[0:1], 0x48
	s_add_co_i32 s18, s18, s2
	s_wait_kmcnt 0x0
	s_ashr_i32 s21, s20, 31
	v_cvt_f32_u32_e32 v1, s14
	s_lshl_b64 s[24:25], s[8:9], 2
	s_cmp_eq_u32 s17, 0
	s_cvt_f32_u32 s2, s14
	s_cvt_f32_u32 s8, s15
	v_rcp_iflag_f32_e32 v1, v1
	s_cselect_b32 s18, ttmp9, s18
	s_add_co_i32 s9, s13, -2
	s_fmamk_f32 s2, s8, 0x4f800000, s2
	v_cvt_f64_i32_e32 v[2:3], s9
	s_sub_co_i32 s17, 0, s14
	s_mul_u64 s[8:9], s[14:15], s[22:23]
	v_mul_f32_e32 v1, 0x4f7ffffe, v1
	v_s_rcp_f32 s2, s2
	s_lshl_b64 s[22:23], s[18:19], 7
	s_add_nc_u64 s[6:7], s[6:7], s[24:25]
	v_or_b32_e32 v0, s22, v0
	v_cvt_u32_f32_e32 v5, v1
	v_mov_b32_e32 v1, s23
	s_ashr_i32 s23, s13, 31
	s_add_co_i32 s24, s13, -1
	s_mov_b32 s22, s13
	v_mul_lo_u32 v4, s17, v5
	s_mul_f32 s17, s2, 0x5f7ffffc
	s_ashr_i32 s25, s24, 31
	s_sub_nc_u64 s[36:37], 0, s[14:15]
	s_mul_u64 s[26:27], s[24:25], s[22:23]
	s_mul_f32 s2, s17, 0x2f800000
	s_lshl_b64 s[24:25], s[26:27], 2
	s_lshr_b64 s[26:27], s[26:27], 1
	s_add_nc_u64 s[24:25], s[24:25], -7
	s_trunc_f32 s13, s2
	v_cmp_gt_u64_e64 s2, s[8:9], v[0:1]
	v_mul_hi_u32 v6, v5, v4
	v_mov_b32_e32 v4, 0
	s_fmamk_f32 s17, s13, 0xcf800000, s17
	s_cvt_u32_f32 s31, s13
	s_delay_alu instid0(SALU_CYCLE_2) | instskip(NEXT) | instid1(VALU_DEP_2)
	s_cvt_u32_f32 s30, s17
	v_add_nc_u32_e32 v12, v5, v6
	s_branch .LBB0_3
.LBB0_2:                                ;   in Loop: Header=BB0_3 Depth=1
	s_or_b32 exec_lo, exec_lo, s1
	s_add_co_i32 s16, s16, 0x10000
	s_delay_alu instid0(SALU_CYCLE_1)
	s_cmp_lt_u32 s16, s3
	s_cbranch_scc0 .LBB0_17
.LBB0_3:                                ; =>This Loop Header: Depth=1
                                        ;     Child Loop BB0_6 Depth 2
	s_and_saveexec_b32 s1, s2
	s_cbranch_execz .LBB0_2
; %bb.4:                                ;   in Loop: Header=BB0_3 Depth=1
	s_clause 0x1
	s_load_b32 s0, s[34:35], 0xc
	s_load_b32 s18, s[34:35], 0x0
	s_mov_b32 s17, s19
	v_mov_b64_e32 v[6:7], v[0:1]
	s_mul_u64 s[38:39], s[10:11], s[16:17]
	s_mov_b32 s41, s19
	s_lshl_b64 s[38:39], s[38:39], 2
	s_mov_b32 s13, 0
	s_add_nc_u64 s[38:39], s[6:7], s[38:39]
	s_wait_kmcnt 0x0
	s_and_b32 s40, s0, 0xffff
	s_delay_alu instid0(SALU_CYCLE_1)
	s_mul_u64 s[40:41], s[40:41], s[18:19]
	s_branch .LBB0_6
.LBB0_5:                                ;   in Loop: Header=BB0_6 Depth=2
	v_add_nc_u64_e32 v[6:7], s[40:41], v[6:7]
	s_delay_alu instid0(VALU_DEP_1)
	v_cmp_le_u64_e32 vcc_lo, s[8:9], v[6:7]
	s_or_b32 s13, vcc_lo, s13
	s_wait_xcnt 0x0
	s_and_not1_b32 exec_lo, exec_lo, s13
	s_cbranch_execz .LBB0_2
.LBB0_6:                                ;   Parent Loop BB0_3 Depth=1
                                        ; =>  This Inner Loop Header: Depth=2
	v_or_b32_e32 v5, s15, v7
                                        ; implicit-def: $vgpr8_vgpr9
	s_mov_b32 s0, exec_lo
	s_delay_alu instid0(VALU_DEP_1)
	v_cmpx_ne_u64_e32 0, v[4:5]
	s_xor_b32 s17, exec_lo, s0
	s_cbranch_execz .LBB0_8
; %bb.7:                                ;   in Loop: Header=BB0_6 Depth=2
	s_mul_u64 s[42:43], s[36:37], s[30:31]
	v_dual_mov_b32 v8, v6 :: v_dual_mov_b32 v9, v4
	s_mul_hi_u32 s45, s30, s43
	s_mul_i32 s44, s30, s43
	s_mul_hi_u32 s18, s30, s42
	s_mul_hi_u32 s0, s31, s42
	s_add_nc_u64 s[44:45], s[18:19], s[44:45]
	s_mul_i32 s18, s31, s42
	s_mul_hi_u32 s33, s31, s43
	s_add_co_u32 s18, s44, s18
	s_add_co_ci_u32 s18, s45, s0
	s_add_co_ci_u32 s45, s33, 0
	s_mul_i32 s44, s31, s43
	v_dual_mov_b32 v10, v7 :: v_dual_mov_b32 v11, v4
	s_add_nc_u64 s[42:43], s[18:19], s[44:45]
	v_mov_b32_e32 v17, v4
	s_add_co_u32 s42, s30, s42
	s_cselect_b32 s0, -1, 0
	s_delay_alu instid0(SALU_CYCLE_1) | instskip(SKIP_1) | instid1(SALU_CYCLE_1)
	s_cmp_lg_u32 s0, 0
	s_add_co_ci_u32 s43, s31, s43
	s_mul_u64 s[44:45], s[36:37], s[42:43]
	s_delay_alu instid0(SALU_CYCLE_1)
	s_mul_hi_u32 s47, s42, s45
	s_mul_i32 s46, s42, s45
	s_mul_hi_u32 s18, s42, s44
	s_mul_i32 s33, s43, s44
	s_add_nc_u64 s[46:47], s[18:19], s[46:47]
	s_mul_hi_u32 s0, s43, s44
	s_mul_hi_u32 s48, s43, s45
	s_add_co_u32 s18, s46, s33
	s_add_co_ci_u32 s18, s47, s0
	s_mul_i32 s44, s43, s45
	s_add_co_ci_u32 s45, s48, 0
	s_delay_alu instid0(SALU_CYCLE_1) | instskip(NEXT) | instid1(SALU_CYCLE_1)
	s_add_nc_u64 s[44:45], s[18:19], s[44:45]
	s_add_co_u32 s0, s42, s44
	s_cselect_b32 s18, -1, 0
	v_mul_hi_u32 v16, v6, s0
	s_cmp_lg_u32 s18, 0
	s_add_co_ci_u32 s18, s43, s45
	s_and_b64 s[42:43], s[0:1], s[28:29]
	v_mul_u64_e32 v[8:9], s[18:19], v[8:9]
	v_mul_u64_e32 v[14:15], s[42:43], v[10:11]
	;; [unrolled: 1-line block ×3, first 2 shown]
	s_delay_alu instid0(VALU_DEP_3) | instskip(NEXT) | instid1(VALU_DEP_1)
	v_add_nc_u64_e32 v[8:9], v[16:17], v[8:9]
	v_add_co_u32 v5, vcc_lo, v8, v14
	s_delay_alu instid0(VALU_DEP_2) | instskip(NEXT) | instid1(VALU_DEP_4)
	v_add_co_ci_u32_e32 v16, vcc_lo, v9, v15, vcc_lo
	v_add_co_ci_u32_e32 v11, vcc_lo, 0, v11, vcc_lo
	s_delay_alu instid0(VALU_DEP_1) | instskip(NEXT) | instid1(VALU_DEP_1)
	v_add_nc_u64_e32 v[8:9], v[16:17], v[10:11]
	v_mul_u64_e32 v[10:11], s[14:15], v[8:9]
	v_add_nc_u64_e32 v[14:15], 2, v[8:9]
	s_delay_alu instid0(VALU_DEP_2) | instskip(NEXT) | instid1(VALU_DEP_3)
	v_sub_nc_u32_e32 v5, v7, v11
	v_sub_co_u32 v10, vcc_lo, v6, v10
	s_delay_alu instid0(VALU_DEP_1) | instskip(NEXT) | instid1(VALU_DEP_3)
	v_sub_co_ci_u32_e64 v17, null, v7, v11, vcc_lo
	v_subrev_co_ci_u32_e64 v5, null, s15, v5, vcc_lo
	s_delay_alu instid0(VALU_DEP_3) | instskip(SKIP_1) | instid1(VALU_DEP_3)
	v_sub_co_u32 v13, s0, v10, s14
	v_cmp_le_u32_e32 vcc_lo, s14, v10
	v_subrev_co_ci_u32_e64 v5, null, 0, v5, s0
	s_delay_alu instid0(VALU_DEP_3) | instskip(SKIP_2) | instid1(VALU_DEP_4)
	v_cmp_le_u32_e64 s0, s14, v13
	v_add_nc_u64_e32 v[10:11], 1, v[8:9]
	v_cndmask_b32_e64 v18, 0, -1, vcc_lo
	v_cmp_eq_u32_e32 vcc_lo, s15, v5
	s_delay_alu instid0(VALU_DEP_4) | instskip(SKIP_1) | instid1(VALU_DEP_1)
	v_cndmask_b32_e64 v13, 0, -1, s0
	v_cmp_le_u32_e64 s0, s15, v5
	v_cndmask_b32_e64 v16, 0, -1, s0
	v_cmp_eq_u32_e64 s0, s15, v17
	s_delay_alu instid0(VALU_DEP_2) | instskip(SKIP_2) | instid1(VALU_DEP_3)
	v_cndmask_b32_e32 v5, v16, v13, vcc_lo
	v_cmp_le_u32_e32 vcc_lo, s15, v17
	v_cndmask_b32_e64 v13, 0, -1, vcc_lo
	v_cmp_ne_u32_e32 vcc_lo, 0, v5
	s_delay_alu instid0(VALU_DEP_2) | instskip(SKIP_1) | instid1(VALU_DEP_2)
	v_dual_cndmask_b32 v5, v13, v18, s0 :: v_dual_cndmask_b32 v11, v11, v15, vcc_lo
	v_cndmask_b32_e32 v10, v10, v14, vcc_lo
	v_cmp_ne_u32_e32 vcc_lo, 0, v5
	s_delay_alu instid0(VALU_DEP_2)
	v_dual_cndmask_b32 v9, v9, v11 :: v_dual_cndmask_b32 v8, v8, v10
.LBB0_8:                                ;   in Loop: Header=BB0_6 Depth=2
	s_and_not1_saveexec_b32 s0, s17
	s_cbranch_execz .LBB0_10
; %bb.9:                                ;   in Loop: Header=BB0_6 Depth=2
	v_mul_hi_u32 v5, v6, v12
	s_delay_alu instid0(VALU_DEP_1) | instskip(NEXT) | instid1(VALU_DEP_1)
	v_mul_lo_u32 v8, v5, s14
	v_dual_add_nc_u32 v9, 1, v5 :: v_dual_sub_nc_u32 v8, v6, v8
	s_delay_alu instid0(VALU_DEP_1) | instskip(SKIP_1) | instid1(VALU_DEP_2)
	v_subrev_nc_u32_e32 v10, s14, v8
	v_cmp_le_u32_e32 vcc_lo, s14, v8
	v_dual_cndmask_b32 v8, v8, v10 :: v_dual_cndmask_b32 v5, v5, v9
	s_delay_alu instid0(VALU_DEP_1) | instskip(NEXT) | instid1(VALU_DEP_2)
	v_cmp_le_u32_e32 vcc_lo, s14, v8
	v_add_nc_u32_e32 v9, 1, v5
	s_delay_alu instid0(VALU_DEP_1)
	v_dual_cndmask_b32 v8, v5, v9 :: v_dual_mov_b32 v9, v4
.LBB0_10:                               ;   in Loop: Header=BB0_6 Depth=2
	s_or_b32 exec_lo, exec_lo, s0
	s_delay_alu instid0(VALU_DEP_1) | instskip(SKIP_2) | instid1(VALU_DEP_1)
	v_mul_u64_e32 v[10:11], s[14:15], v[8:9]
	s_cmp_lt_i32 s12, 0x7a
	s_mov_b32 s0, -1
	v_sub_nc_u64_e32 v[10:11], v[6:7], v[10:11]
	s_cbranch_scc1 .LBB0_14
; %bb.11:                               ;   in Loop: Header=BB0_6 Depth=2
	s_cmp_eq_u32 s12, 0x7a
	s_cbranch_scc0 .LBB0_13
; %bb.12:                               ;   in Loop: Header=BB0_6 Depth=2
	s_delay_alu instid0(VALU_DEP_1) | instskip(NEXT) | instid1(VALU_DEP_1)
	v_lshlrev_b64_e32 v[14:15], 3, v[10:11]
	v_sub_nc_u64_e32 v[14:15], s[24:25], v[14:15]
	s_delay_alu instid0(VALU_DEP_1) | instskip(NEXT) | instid1(VALU_DEP_2)
	v_cvt_f64_u32_e32 v[16:17], v15
	v_cvt_f64_u32_e32 v[14:15], v14
	s_delay_alu instid0(VALU_DEP_2) | instskip(NEXT) | instid1(VALU_DEP_1)
	v_ldexp_f64 v[16:17], v[16:17], 32
	v_add_f64_e32 v[14:15], v[16:17], v[14:15]
	s_delay_alu instid0(VALU_DEP_1) | instskip(SKIP_1) | instid1(VALU_DEP_1)
	v_cmp_gt_f64_e32 vcc_lo, 0x10000000, v[14:15]
	v_cndmask_b32_e64 v5, 0, 0x100, vcc_lo
	v_ldexp_f64 v[14:15], v[14:15], v5
	v_cndmask_b32_e64 v5, 0, 0xffffff80, vcc_lo
	s_delay_alu instid0(VALU_DEP_2) | instskip(SKIP_1) | instid1(TRANS32_DEP_1)
	v_rsq_f64_e32 v[16:17], v[14:15]
	v_cmp_class_f64_e64 vcc_lo, v[14:15], 0x260
	v_mul_f64_e32 v[18:19], v[14:15], v[16:17]
	v_mul_f64_e32 v[16:17], 0.5, v[16:17]
	s_delay_alu instid0(VALU_DEP_1) | instskip(NEXT) | instid1(VALU_DEP_1)
	v_fma_f64 v[20:21], -v[16:17], v[18:19], 0.5
	v_fmac_f64_e32 v[18:19], v[18:19], v[20:21]
	v_fmac_f64_e32 v[16:17], v[16:17], v[20:21]
	s_delay_alu instid0(VALU_DEP_2) | instskip(NEXT) | instid1(VALU_DEP_1)
	v_fma_f64 v[20:21], -v[18:19], v[18:19], v[14:15]
	v_fmac_f64_e32 v[18:19], v[20:21], v[16:17]
	s_delay_alu instid0(VALU_DEP_1) | instskip(NEXT) | instid1(VALU_DEP_1)
	v_fma_f64 v[20:21], -v[18:19], v[18:19], v[14:15]
	v_fmac_f64_e32 v[18:19], v[20:21], v[16:17]
	s_delay_alu instid0(VALU_DEP_1) | instskip(SKIP_1) | instid1(VALU_DEP_2)
	v_ldexp_f64 v[16:17], v[18:19], v5
	v_mul_u64_e32 v[18:19], s[4:5], v[8:9]
	v_dual_cndmask_b32 v15, v17, v15 :: v_dual_cndmask_b32 v14, v16, v14
	s_delay_alu instid0(VALU_DEP_2) | instskip(NEXT) | instid1(VALU_DEP_2)
	v_lshl_add_u64 v[18:19], v[18:19], 2, s[38:39]
	v_fma_f64 v[14:15], v[14:15], 0.5, -0.5
	s_delay_alu instid0(VALU_DEP_1) | instskip(NEXT) | instid1(VALU_DEP_1)
	v_floor_f64_e32 v[14:15], v[14:15]
	v_add_f64_e64 v[14:15], v[2:3], -v[14:15]
	s_delay_alu instid0(VALU_DEP_1) | instskip(NEXT) | instid1(VALU_DEP_1)
	v_trunc_f64_e32 v[14:15], v[14:15]
	v_ldexp_f64 v[16:17], v[14:15], 0xffffffe0
	s_delay_alu instid0(VALU_DEP_1) | instskip(NEXT) | instid1(VALU_DEP_1)
	v_floor_f64_e32 v[16:17], v[16:17]
	v_fmac_f64_e32 v[14:15], 0xc1f00000, v[16:17]
	s_delay_alu instid0(VALU_DEP_1) | instskip(SKIP_1) | instid1(VALU_DEP_1)
	v_cvt_u32_f64_e32 v14, v[14:15]
	v_cvt_u32_f64_e32 v15, v[16:17]
	v_sub_nc_u64_e32 v[16:17], s[22:23], v[14:15]
	v_mul_u64_e32 v[22:23], s[20:21], v[14:15]
	s_delay_alu instid0(VALU_DEP_2) | instskip(NEXT) | instid1(VALU_DEP_1)
	v_add_nc_u64_e32 v[20:21], -1, v[16:17]
	v_mul_u64_e32 v[16:17], v[20:21], v[16:17]
	v_sub_nc_u64_e64 v[20:21], v[10:11], s[26:27]
	s_delay_alu instid0(VALU_DEP_4) | instskip(NEXT) | instid1(VALU_DEP_1)
	v_lshl_add_u64 v[18:19], v[22:23], 2, v[18:19]
	v_lshl_add_u64 v[18:19], v[20:21], 2, v[18:19]
	s_delay_alu instid0(VALU_DEP_1) | instskip(SKIP_1) | instid1(VALU_DEP_1)
	v_lshl_add_u64 v[14:15], v[14:15], 2, v[18:19]
	v_lshlrev_b64_e32 v[16:17], 1, v[16:17]
	v_and_b32_e32 v16, -4, v16
	s_delay_alu instid0(VALU_DEP_1)
	v_add_nc_u64_e32 v[14:15], v[14:15], v[16:17]
	global_store_b32 v[14:15], v4, off offset:4
.LBB0_13:                               ;   in Loop: Header=BB0_6 Depth=2
	s_mov_b32 s0, 0
.LBB0_14:                               ;   in Loop: Header=BB0_6 Depth=2
	s_delay_alu instid0(SALU_CYCLE_1)
	s_and_not1_b32 vcc_lo, exec_lo, s0
	s_cbranch_vccnz .LBB0_5
; %bb.15:                               ;   in Loop: Header=BB0_6 Depth=2
	s_cmp_lg_u32 s12, 0x79
	s_cbranch_scc1 .LBB0_5
; %bb.16:                               ;   in Loop: Header=BB0_6 Depth=2
	s_wait_xcnt 0x0
	v_lshlrev_b64_e32 v[14:15], 3, v[10:11]
	v_mul_u64_e32 v[8:9], s[4:5], v[8:9]
	s_delay_alu instid0(VALU_DEP_2) | instskip(NEXT) | instid1(VALU_DEP_3)
	v_cvt_f64_u32_e32 v[16:17], v15
	v_or_b32_e32 v5, 1, v14
	s_delay_alu instid0(VALU_DEP_1) | instskip(NEXT) | instid1(VALU_DEP_4)
	v_cvt_f64_u32_e32 v[14:15], v5
	v_lshl_add_u64 v[8:9], v[8:9], 2, s[38:39]
	s_delay_alu instid0(VALU_DEP_4) | instskip(NEXT) | instid1(VALU_DEP_1)
	v_ldexp_f64 v[16:17], v[16:17], 32
	v_add_f64_e32 v[14:15], v[16:17], v[14:15]
	s_delay_alu instid0(VALU_DEP_1) | instskip(SKIP_1) | instid1(VALU_DEP_1)
	v_cmp_gt_f64_e32 vcc_lo, 0x10000000, v[14:15]
	v_cndmask_b32_e64 v5, 0, 0x100, vcc_lo
	v_ldexp_f64 v[14:15], v[14:15], v5
	v_cndmask_b32_e64 v5, 0, 0xffffff80, vcc_lo
	s_delay_alu instid0(VALU_DEP_2) | instskip(SKIP_1) | instid1(TRANS32_DEP_1)
	v_rsq_f64_e32 v[16:17], v[14:15]
	v_cmp_class_f64_e64 vcc_lo, v[14:15], 0x260
	v_mul_f64_e32 v[18:19], v[14:15], v[16:17]
	v_mul_f64_e32 v[16:17], 0.5, v[16:17]
	s_delay_alu instid0(VALU_DEP_1) | instskip(NEXT) | instid1(VALU_DEP_1)
	v_fma_f64 v[20:21], -v[16:17], v[18:19], 0.5
	v_fmac_f64_e32 v[18:19], v[18:19], v[20:21]
	v_fmac_f64_e32 v[16:17], v[16:17], v[20:21]
	s_delay_alu instid0(VALU_DEP_2) | instskip(NEXT) | instid1(VALU_DEP_1)
	v_fma_f64 v[20:21], -v[18:19], v[18:19], v[14:15]
	v_fmac_f64_e32 v[18:19], v[20:21], v[16:17]
	s_delay_alu instid0(VALU_DEP_1) | instskip(NEXT) | instid1(VALU_DEP_1)
	v_fma_f64 v[20:21], -v[18:19], v[18:19], v[14:15]
	v_fmac_f64_e32 v[18:19], v[20:21], v[16:17]
	s_delay_alu instid0(VALU_DEP_1) | instskip(NEXT) | instid1(VALU_DEP_1)
	v_ldexp_f64 v[16:17], v[18:19], v5
	v_dual_cndmask_b32 v15, v17, v15 :: v_dual_cndmask_b32 v14, v16, v14
	s_delay_alu instid0(VALU_DEP_1) | instskip(NEXT) | instid1(VALU_DEP_1)
	v_add_f64_e32 v[14:15], -1.0, v[14:15]
	v_mul_f64_e32 v[14:15], 0.5, v[14:15]
	s_delay_alu instid0(VALU_DEP_1) | instskip(NEXT) | instid1(VALU_DEP_1)
	v_trunc_f64_e32 v[14:15], v[14:15]
	v_ldexp_f64 v[16:17], v[14:15], 0xffffffe0
	s_delay_alu instid0(VALU_DEP_1) | instskip(NEXT) | instid1(VALU_DEP_1)
	v_floor_f64_e32 v[16:17], v[16:17]
	v_fmac_f64_e32 v[14:15], 0xc1f00000, v[16:17]
	s_delay_alu instid0(VALU_DEP_1) | instskip(SKIP_1) | instid1(VALU_DEP_2)
	v_cvt_u32_f64_e32 v14, v[14:15]
	v_cvt_u32_f64_e32 v15, v[16:17]
	v_mad_nc_u64_u32 v[16:17], s20, v14, s[20:21]
	s_delay_alu instid0(VALU_DEP_2) | instskip(SKIP_1) | instid1(VALU_DEP_3)
	v_mad_nc_u64_u32 v[18:19], v14, v14, v[14:15]
	v_mul_lo_u32 v5, v14, v15
	v_mad_u32 v13, s21, v14, v17
	s_delay_alu instid0(VALU_DEP_2) | instskip(NEXT) | instid1(VALU_DEP_2)
	v_add3_u32 v19, v5, v19, v5
	v_mad_u32 v17, s20, v15, v13
	s_delay_alu instid0(VALU_DEP_2) | instskip(NEXT) | instid1(VALU_DEP_1)
	v_lshrrev_b64 v[14:15], 1, v[18:19]
	v_sub_nc_u64_e32 v[10:11], v[10:11], v[14:15]
	s_delay_alu instid0(VALU_DEP_3) | instskip(NEXT) | instid1(VALU_DEP_1)
	v_lshl_add_u64 v[8:9], v[16:17], 2, v[8:9]
	v_lshl_add_u64 v[8:9], v[10:11], 2, v[8:9]
	global_store_b32 v[8:9], v4, off
	s_branch .LBB0_5
.LBB0_17:
	s_endpgm
	.section	.rodata,"a",@progbits
	.p2align	6, 0x0
	.amdhsa_kernel _ZL18rocblas_trtri_fillILi128EfPfEvP15_rocblas_handle13rocblas_fill_ililT1_llii
		.amdhsa_group_segment_fixed_size 0
		.amdhsa_private_segment_fixed_size 0
		.amdhsa_kernarg_size 328
		.amdhsa_user_sgpr_count 2
		.amdhsa_user_sgpr_dispatch_ptr 0
		.amdhsa_user_sgpr_queue_ptr 0
		.amdhsa_user_sgpr_kernarg_segment_ptr 1
		.amdhsa_user_sgpr_dispatch_id 0
		.amdhsa_user_sgpr_kernarg_preload_length 0
		.amdhsa_user_sgpr_kernarg_preload_offset 0
		.amdhsa_user_sgpr_private_segment_size 0
		.amdhsa_wavefront_size32 1
		.amdhsa_uses_dynamic_stack 0
		.amdhsa_enable_private_segment 0
		.amdhsa_system_sgpr_workgroup_id_x 1
		.amdhsa_system_sgpr_workgroup_id_y 0
		.amdhsa_system_sgpr_workgroup_id_z 1
		.amdhsa_system_sgpr_workgroup_info 0
		.amdhsa_system_vgpr_workitem_id 0
		.amdhsa_next_free_vgpr 24
		.amdhsa_next_free_sgpr 49
		.amdhsa_named_barrier_count 0
		.amdhsa_reserve_vcc 1
		.amdhsa_float_round_mode_32 0
		.amdhsa_float_round_mode_16_64 0
		.amdhsa_float_denorm_mode_32 3
		.amdhsa_float_denorm_mode_16_64 3
		.amdhsa_fp16_overflow 0
		.amdhsa_memory_ordered 1
		.amdhsa_forward_progress 1
		.amdhsa_inst_pref_size 15
		.amdhsa_round_robin_scheduling 0
		.amdhsa_exception_fp_ieee_invalid_op 0
		.amdhsa_exception_fp_denorm_src 0
		.amdhsa_exception_fp_ieee_div_zero 0
		.amdhsa_exception_fp_ieee_overflow 0
		.amdhsa_exception_fp_ieee_underflow 0
		.amdhsa_exception_fp_ieee_inexact 0
		.amdhsa_exception_int_div_zero 0
	.end_amdhsa_kernel
	.section	.text._ZL18rocblas_trtri_fillILi128EfPfEvP15_rocblas_handle13rocblas_fill_ililT1_llii,"axG",@progbits,_ZL18rocblas_trtri_fillILi128EfPfEvP15_rocblas_handle13rocblas_fill_ililT1_llii,comdat
.Lfunc_end0:
	.size	_ZL18rocblas_trtri_fillILi128EfPfEvP15_rocblas_handle13rocblas_fill_ililT1_llii, .Lfunc_end0-_ZL18rocblas_trtri_fillILi128EfPfEvP15_rocblas_handle13rocblas_fill_ililT1_llii
                                        ; -- End function
	.set _ZL18rocblas_trtri_fillILi128EfPfEvP15_rocblas_handle13rocblas_fill_ililT1_llii.num_vgpr, 24
	.set _ZL18rocblas_trtri_fillILi128EfPfEvP15_rocblas_handle13rocblas_fill_ililT1_llii.num_agpr, 0
	.set _ZL18rocblas_trtri_fillILi128EfPfEvP15_rocblas_handle13rocblas_fill_ililT1_llii.numbered_sgpr, 49
	.set _ZL18rocblas_trtri_fillILi128EfPfEvP15_rocblas_handle13rocblas_fill_ililT1_llii.num_named_barrier, 0
	.set _ZL18rocblas_trtri_fillILi128EfPfEvP15_rocblas_handle13rocblas_fill_ililT1_llii.private_seg_size, 0
	.set _ZL18rocblas_trtri_fillILi128EfPfEvP15_rocblas_handle13rocblas_fill_ililT1_llii.uses_vcc, 1
	.set _ZL18rocblas_trtri_fillILi128EfPfEvP15_rocblas_handle13rocblas_fill_ililT1_llii.uses_flat_scratch, 0
	.set _ZL18rocblas_trtri_fillILi128EfPfEvP15_rocblas_handle13rocblas_fill_ililT1_llii.has_dyn_sized_stack, 0
	.set _ZL18rocblas_trtri_fillILi128EfPfEvP15_rocblas_handle13rocblas_fill_ililT1_llii.has_recursion, 0
	.set _ZL18rocblas_trtri_fillILi128EfPfEvP15_rocblas_handle13rocblas_fill_ililT1_llii.has_indirect_call, 0
	.section	.AMDGPU.csdata,"",@progbits
; Kernel info:
; codeLenInByte = 1816
; TotalNumSgprs: 51
; NumVgprs: 24
; ScratchSize: 0
; MemoryBound: 0
; FloatMode: 240
; IeeeMode: 1
; LDSByteSize: 0 bytes/workgroup (compile time only)
; SGPRBlocks: 0
; VGPRBlocks: 1
; NumSGPRsForWavesPerEU: 51
; NumVGPRsForWavesPerEU: 24
; NamedBarCnt: 0
; Occupancy: 16
; WaveLimiterHint : 0
; COMPUTE_PGM_RSRC2:SCRATCH_EN: 0
; COMPUTE_PGM_RSRC2:USER_SGPR: 2
; COMPUTE_PGM_RSRC2:TRAP_HANDLER: 0
; COMPUTE_PGM_RSRC2:TGID_X_EN: 1
; COMPUTE_PGM_RSRC2:TGID_Y_EN: 0
; COMPUTE_PGM_RSRC2:TGID_Z_EN: 1
; COMPUTE_PGM_RSRC2:TIDIG_COMP_CNT: 0
	.section	.text._ZL26rocblas_trtri_small_kernelILi16EfPKfPfEv13rocblas_fill_17rocblas_diagonal_iT1_lillT2_lilli,"axG",@progbits,_ZL26rocblas_trtri_small_kernelILi16EfPKfPfEv13rocblas_fill_17rocblas_diagonal_iT1_lillT2_lilli,comdat
	.globl	_ZL26rocblas_trtri_small_kernelILi16EfPKfPfEv13rocblas_fill_17rocblas_diagonal_iT1_lillT2_lilli ; -- Begin function _ZL26rocblas_trtri_small_kernelILi16EfPKfPfEv13rocblas_fill_17rocblas_diagonal_iT1_lillT2_lilli
	.p2align	8
	.type	_ZL26rocblas_trtri_small_kernelILi16EfPKfPfEv13rocblas_fill_17rocblas_diagonal_iT1_lillT2_lilli,@function
_ZL26rocblas_trtri_small_kernelILi16EfPKfPfEv13rocblas_fill_17rocblas_diagonal_iT1_lillT2_lilli: ; @_ZL26rocblas_trtri_small_kernelILi16EfPKfPfEv13rocblas_fill_17rocblas_diagonal_iT1_lillT2_lilli
; %bb.0:
	s_load_b32 s23, s[0:1], 0x60
	s_bfe_u32 s2, ttmp6, 0x40014
	s_lshr_b32 s3, ttmp7, 16
	s_add_co_i32 s2, s2, 1
	s_bfe_u32 s5, ttmp6, 0x40008
	s_mul_i32 s4, s3, s2
	s_getreg_b32 s2, hwreg(HW_REG_IB_STS2, 6, 4)
	s_add_co_i32 s5, s5, s4
	s_cmp_eq_u32 s2, 0
	s_mov_b32 s27, 0
	s_cselect_b32 s24, s3, s5
	s_wait_kmcnt 0x0
	s_cmp_ge_u32 s24, s23
	s_cbranch_scc1 .LBB1_58
; %bb.1:
	s_clause 0x5
	s_load_b32 s28, s[0:1], 0x20
	s_load_b96 s[20:22], s[0:1], 0x0
	s_load_b32 s30, s[0:1], 0x48
	s_load_b128 s[16:19], s[0:1], 0x10
	s_load_b256 s[4:11], s[0:1], 0x28
	s_load_b128 s[12:15], s[0:1], 0x50
	v_mov_b32_e32 v3, 0
	v_cmp_gt_u32_e32 vcc_lo, 3, v0
	v_dual_lshlrev_b32 v2, 2, v0 :: v_dual_add_nc_u32 v1, 1, v0
	s_delay_alu instid0(VALU_DEP_1)
	v_xor_b32_e32 v19, -4, v2
	s_wait_kmcnt 0x0
	s_ashr_i32 s29, s28, 31
	v_mul_lo_u32 v4, v0, s22
	s_cmp_lg_u64 s[28:29], 1
	v_sub_nc_u32_e32 v6, s22, v0
	s_cselect_b32 s25, -1, 0
	s_ashr_i32 s31, s30, 31
	v_cmp_gt_u32_e64 s0, s22, v0
	s_cmp_lg_u64 s[30:31], 1
	v_cmp_lt_u32_e64 s1, 1, v6
	s_cselect_b32 s48, -1, 0
	s_bfe_u32 s3, ttmp6, 0x4000c
	s_and_b32 s26, ttmp6, 15
	s_add_co_i32 s3, s3, 1
	s_lshl_b64 s[36:37], s[10:11], 2
	s_mul_i32 s3, ttmp9, s3
	s_lshl_b64 s[18:19], s[18:19], 2
	s_add_co_i32 s26, s26, s3
	s_cmp_eq_u32 s2, 0
	s_add_nc_u64 s[10:11], s[8:9], s[36:37]
	s_cselect_b32 s26, ttmp9, s26
	s_add_nc_u64 s[2:3], s[16:17], s[18:19]
	s_mul_u64 s[6:7], s[6:7], s[26:27]
	s_mul_u64 s[14:15], s[14:15], s[26:27]
	s_lshl_b64 s[38:39], s[6:7], 2
	s_lshl_b64 s[40:41], s[14:15], 2
	s_cmp_gt_i32 s22, 0
	s_add_nc_u64 s[2:3], s[2:3], s[38:39]
	s_cselect_b32 s43, -1, 0
	s_cmp_lg_u32 s20, 0x7a
	s_add_nc_u64 s[10:11], s[10:11], s[40:41]
	s_cselect_b32 s44, -1, 0
	s_add_co_i32 s45, s22, -1
	s_cmp_lg_u32 s21, 0x84
	v_dual_sub_nc_u32 v7, s45, v0 :: v_dual_bitop2_b32 v14, -2, v6 bitop3:0x40
	s_cselect_b32 s47, -1, 0
	s_add_co_i32 s7, s22, -2
	s_cmp_lg_u32 s22, 1
	s_add_nc_u64 s[20:21], s[40:41], s[36:37]
	s_cselect_b32 s14, -1, 0
	s_lshl_b32 s50, s22, 2
	s_or_b32 s15, s25, s14
	s_or_b32 s14, s14, s48
	s_nor_b32 s48, vcc_lo, s15
	s_nor_b32 s49, vcc_lo, s14
	s_add_nc_u64 s[14:15], s[38:39], s[18:19]
	v_dual_add_nc_u32 v20, s50, v2 :: v_dual_bitop2_b32 v18, 30, v1 bitop3:0x40
	s_add_nc_u64 s[14:15], s[16:17], s[14:15]
	s_add_nc_u64 s[8:9], s[8:9], s[20:21]
	v_add_lshl_u32 v15, v4, v0, 2
	v_add_nc_u64_e32 v[4:5], s[2:3], v[2:3]
	v_dual_sub_nc_u32 v16, s45, v14 :: v_dual_lshlrev_b32 v17, 2, v7
	v_cmp_ne_u32_e64 s2, v6, v14
	v_add_nc_u64_e32 v[6:7], s[10:11], v[2:3]
	v_add_nc_u64_e32 v[8:9], s[14:15], v[2:3]
	;; [unrolled: 1-line block ×3, first 2 shown]
	v_cmp_ne_u32_e64 s3, v1, v18
	s_lshl_b64 s[14:15], s[28:29], 2
	s_lshl_b64 s[8:9], s[30:31], 2
	s_mov_b32 s34, s28
	s_mov_b32 s33, s22
	s_mov_b32 s42, s22
	s_mov_b32 s35, s29
	s_mov_b32 s46, s45
	s_mov_b32 s6, s45
	s_mov_b32 s10, s30
	s_mov_b32 s11, s31
	s_lshl_b64 s[16:17], s[4:5], 2
	s_sub_nc_u64 s[18:19], 0, s[14:15]
	s_add_co_i32 s51, s50, 4
	s_lshl_b64 s[20:21], s[12:13], 2
	s_sub_nc_u64 s[36:37], 0, s[8:9]
	s_branch .LBB1_4
.LBB1_2:                                ;   in Loop: Header=BB1_4 Depth=1
	s_or_b32 exec_lo, exec_lo, s52
.LBB1_3:                                ;   in Loop: Header=BB1_4 Depth=1
	s_add_co_i32 s24, s24, 0x10000
	s_delay_alu instid0(SALU_CYCLE_1)
	s_cmp_lt_u32 s24, s23
	s_cbranch_scc0 .LBB1_58
.LBB1_4:                                ; =>This Loop Header: Depth=1
                                        ;     Child Loop BB1_9 Depth 2
                                        ;     Child Loop BB1_13 Depth 2
	;; [unrolled: 1-line block ×5, first 2 shown]
                                        ;       Child Loop BB1_36 Depth 3
                                        ;     Child Loop BB1_44 Depth 2
                                        ;     Child Loop BB1_48 Depth 2
	;; [unrolled: 1-line block ×4, first 2 shown]
	s_and_not1_b32 vcc_lo, exec_lo, s43
	s_cbranch_vccnz .LBB1_3
; %bb.5:                                ;   in Loop: Header=BB1_4 Depth=1
	s_mov_b32 s25, s27
	s_and_saveexec_b32 s52, s0
	s_cbranch_execz .LBB1_23
; %bb.6:                                ;   in Loop: Header=BB1_4 Depth=1
	s_mul_u64 s[38:39], s[16:17], s[24:25]
	s_and_not1_b32 vcc_lo, exec_lo, s44
	s_mov_b32 s26, -1
	s_cbranch_vccnz .LBB1_15
; %bb.7:                                ;   in Loop: Header=BB1_4 Depth=1
	v_mov_b32_e32 v3, s45
	s_mov_b32 s40, -1
	s_and_saveexec_b32 s53, s1
	s_cbranch_execz .LBB1_11
; %bb.8:                                ;   in Loop: Header=BB1_4 Depth=1
	s_mul_u64 s[40:41], s[4:5], s[24:25]
	v_mov_b32_e32 v3, v14
	v_lshl_add_u64 v[12:13], s[40:41], 2, v[4:5]
	s_mov_b32 s54, 0
	s_mov_b64 s[40:41], s[6:7]
.LBB1_9:                                ;   Parent Loop BB1_4 Depth=1
                                        ; =>  This Inner Loop Header: Depth=2
	s_delay_alu instid0(SALU_CYCLE_1)
	s_mov_b32 s26, s40
	s_mov_b32 s56, s41
	;; [unrolled: 1-line block ×3, first 2 shown]
	s_mul_u64 s[58:59], s[28:29], s[26:27]
	s_mul_u64 s[56:57], s[34:35], s[56:57]
	v_lshl_add_u64 v[22:23], s[58:59], 2, v[12:13]
	v_lshl_add_u64 v[24:25], s[56:57], 2, v[12:13]
	v_add_nc_u32_e32 v3, -2, v3
	s_sub_co_i32 s55, s45, s40
	s_clause 0x1
	global_load_b32 v21, v[22:23], off
	global_load_b32 v22, v[24:25], off
	s_sub_co_i32 s26, s46, s41
	s_mul_i32 s55, s55, s33
	v_cmp_eq_u32_e32 vcc_lo, 0, v3
	s_mul_i32 s26, s26, s42
	v_lshl_add_u32 v23, s55, 2, v17
	s_wait_xcnt 0x0
	v_lshl_add_u32 v24, s26, 2, v17
	s_add_co_i32 s41, s41, -2
	s_add_co_i32 s40, s40, -2
	s_or_b32 s54, vcc_lo, s54
	s_wait_loadcnt 0x1
	ds_store_b32 v23, v21
	s_wait_loadcnt 0x0
	ds_store_b32 v24, v22
	s_and_not1_b32 exec_lo, exec_lo, s54
	s_cbranch_execnz .LBB1_9
; %bb.10:                               ;   in Loop: Header=BB1_4 Depth=1
	s_or_b32 exec_lo, exec_lo, s54
	v_mov_b32_e32 v3, v16
	s_or_not1_b32 s40, s2, exec_lo
.LBB1_11:                               ;   in Loop: Header=BB1_4 Depth=1
	s_or_b32 exec_lo, exec_lo, s53
	s_and_saveexec_b32 s26, s40
	s_cbranch_execz .LBB1_14
; %bb.12:                               ;   in Loop: Header=BB1_4 Depth=1
	v_mad_nc_u64_u32 v[12:13], s14, v3, s[38:39]
	v_lshlrev_b32_e32 v21, 2, v3
	s_mov_b32 s40, 0
	s_delay_alu instid0(VALU_DEP_2) | instskip(NEXT) | instid1(VALU_DEP_2)
	v_mad_u32 v13, s15, v3, v13
	v_dual_add_nc_u32 v3, 1, v3 :: v_dual_sub_nc_u32 v21, s50, v21
	s_delay_alu instid0(VALU_DEP_1) | instskip(NEXT) | instid1(VALU_DEP_3)
	v_mad_u32 v21, s22, v21, v19
	v_add_nc_u64_e32 v[12:13], v[8:9], v[12:13]
.LBB1_13:                               ;   Parent Loop BB1_4 Depth=1
                                        ; =>  This Inner Loop Header: Depth=2
	global_load_b32 v22, v[12:13], off
	v_add_nc_u32_e32 v3, -1, v3
	s_wait_xcnt 0x0
	v_add_nc_u64_e32 v[12:13], s[18:19], v[12:13]
	s_wait_loadcnt 0x0
	ds_store_b32 v21, v22
	v_add_nc_u32_e32 v21, s50, v21
	v_cmp_le_u32_e32 vcc_lo, v3, v0
	s_or_b32 s40, vcc_lo, s40
	s_delay_alu instid0(SALU_CYCLE_1)
	s_and_not1_b32 exec_lo, exec_lo, s40
	s_cbranch_execnz .LBB1_13
.LBB1_14:                               ;   in Loop: Header=BB1_4 Depth=1
	s_or_b32 exec_lo, exec_lo, s26
	s_mov_b32 s26, 0
.LBB1_15:                               ;   in Loop: Header=BB1_4 Depth=1
	s_delay_alu instid0(SALU_CYCLE_1)
	s_and_not1_b32 vcc_lo, exec_lo, s26
	s_cbranch_vccnz .LBB1_23
; %bb.16:                               ;   in Loop: Header=BB1_4 Depth=1
	v_mov_b32_e32 v21, 0
	s_mov_b32 s40, -1
	s_and_saveexec_b32 s26, s48
	s_cbranch_execz .LBB1_20
; %bb.17:                               ;   in Loop: Header=BB1_4 Depth=1
	v_add_nc_u64_e32 v[12:13], s[38:39], v[8:9]
	v_dual_mov_b32 v3, v2 :: v_dual_mov_b32 v21, v18
	s_mov_b32 s40, 0
.LBB1_18:                               ;   Parent Loop BB1_4 Depth=1
                                        ; =>  This Inner Loop Header: Depth=2
	global_load_b64 v[22:23], v[12:13], off
	v_add_nc_u32_e32 v21, -2, v21
	s_wait_xcnt 0x0
	v_add_nc_u64_e32 v[12:13], 8, v[12:13]
	s_wait_loadcnt 0x0
	ds_store_2addr_b32 v3, v22, v23 offset1:1
	v_add_nc_u32_e32 v3, 8, v3
	v_cmp_eq_u32_e32 vcc_lo, 0, v21
	s_or_b32 s40, vcc_lo, s40
	s_delay_alu instid0(SALU_CYCLE_1)
	s_and_not1_b32 exec_lo, exec_lo, s40
	s_cbranch_execnz .LBB1_18
; %bb.19:                               ;   in Loop: Header=BB1_4 Depth=1
	s_or_b32 exec_lo, exec_lo, s40
	v_mov_b32_e32 v21, v18
	s_or_not1_b32 s40, s3, exec_lo
.LBB1_20:                               ;   in Loop: Header=BB1_4 Depth=1
	s_or_b32 exec_lo, exec_lo, s26
	s_delay_alu instid0(SALU_CYCLE_1)
	s_and_b32 exec_lo, exec_lo, s40
	s_cbranch_execz .LBB1_23
; %bb.21:                               ;   in Loop: Header=BB1_4 Depth=1
	v_mad_nc_u64_u32 v[12:13], s14, v21, s[38:39]
	v_mad_u32 v3, s50, v21, v2
	s_mov_b32 s26, 0
	s_delay_alu instid0(VALU_DEP_2) | instskip(SKIP_1) | instid1(VALU_DEP_2)
	v_mad_i32_i24 v13, s15, v21, v13
	v_sub_nc_u32_e32 v21, v1, v21
	v_add_nc_u64_e32 v[12:13], v[8:9], v[12:13]
.LBB1_22:                               ;   Parent Loop BB1_4 Depth=1
                                        ; =>  This Inner Loop Header: Depth=2
	global_load_b32 v22, v[12:13], off
	v_add_nc_u32_e32 v21, -1, v21
	s_wait_xcnt 0x0
	v_add_nc_u64_e32 v[12:13], s[14:15], v[12:13]
	s_wait_loadcnt 0x0
	ds_store_b32 v3, v22
	v_add_nc_u32_e32 v3, s50, v3
	v_cmp_eq_u32_e32 vcc_lo, 0, v21
	s_or_b32 s26, vcc_lo, s26
	s_delay_alu instid0(SALU_CYCLE_1)
	s_and_not1_b32 exec_lo, exec_lo, s26
	s_cbranch_execnz .LBB1_22
.LBB1_23:                               ;   in Loop: Header=BB1_4 Depth=1
	s_or_b32 exec_lo, exec_lo, s52
	s_wait_dscnt 0x0
	; wave barrier
	s_and_saveexec_b32 s26, s0
	s_cbranch_execz .LBB1_29
; %bb.24:                               ;   in Loop: Header=BB1_4 Depth=1
	v_mov_b32_e32 v12, 1.0
	s_and_not1_b32 vcc_lo, exec_lo, s47
	s_cbranch_vccnz .LBB1_28
; %bb.25:                               ;   in Loop: Header=BB1_4 Depth=1
	ds_load_b32 v3, v15
	v_mov_b32_e32 v12, 1.0
	s_mov_b32 s38, exec_lo
	s_wait_dscnt 0x0
	v_cmpx_neq_f32_e32 0, v3
	s_cbranch_execz .LBB1_27
; %bb.26:                               ;   in Loop: Header=BB1_4 Depth=1
	v_div_scale_f32 v12, null, v3, v3, 1.0
	s_delay_alu instid0(VALU_DEP_1) | instskip(SKIP_1) | instid1(TRANS32_DEP_1)
	v_rcp_f32_e32 v13, v12
	v_nop
	v_fma_f32 v21, -v12, v13, 1.0
	s_delay_alu instid0(VALU_DEP_1) | instskip(SKIP_1) | instid1(VALU_DEP_1)
	v_fmac_f32_e32 v13, v21, v13
	v_div_scale_f32 v21, vcc_lo, 1.0, v3, 1.0
	v_mul_f32_e32 v22, v21, v13
	s_delay_alu instid0(VALU_DEP_1) | instskip(NEXT) | instid1(VALU_DEP_1)
	v_fma_f32 v23, -v12, v22, v21
	v_fmac_f32_e32 v22, v23, v13
	s_delay_alu instid0(VALU_DEP_1) | instskip(NEXT) | instid1(VALU_DEP_1)
	v_fma_f32 v12, -v12, v22, v21
	v_div_fmas_f32 v12, v12, v13, v22
	s_delay_alu instid0(VALU_DEP_1)
	v_div_fixup_f32 v12, v12, v3, 1.0
.LBB1_27:                               ;   in Loop: Header=BB1_4 Depth=1
	s_or_b32 exec_lo, exec_lo, s38
.LBB1_28:                               ;   in Loop: Header=BB1_4 Depth=1
	ds_store_b32 v15, v12
.LBB1_29:                               ;   in Loop: Header=BB1_4 Depth=1
	s_or_b32 exec_lo, exec_lo, s26
	v_mov_b32_e32 v3, v20
	s_mov_b32 s26, 0
	s_mov_b32 s38, 4
	s_wait_dscnt 0x0
	; wave barrier
	s_branch .LBB1_31
.LBB1_30:                               ;   in Loop: Header=BB1_31 Depth=2
	v_add_nc_u32_e32 v3, s50, v3
	s_add_co_i32 s38, s38, s51
	s_cmp_eq_u32 s26, s22
	; wave barrier
	s_cbranch_scc1 .LBB1_40
.LBB1_31:                               ;   Parent Loop BB1_4 Depth=1
                                        ; =>  This Loop Header: Depth=2
                                        ;       Child Loop BB1_36 Depth 3
	v_mov_b32_e32 v12, 0
	s_mul_i32 s39, s26, s22
	s_mov_b32 s40, exec_lo
	v_cmpx_lt_u32_e64 s26, v0
	s_cbranch_execz .LBB1_33
; %bb.32:                               ;   in Loop: Header=BB1_31 Depth=2
	s_lshl_b32 s41, s26, 2
	s_lshl_b32 s52, s39, 2
	s_delay_alu instid0(SALU_CYCLE_1) | instskip(NEXT) | instid1(SALU_CYCLE_1)
	s_add_co_i32 s41, s41, s52
	v_dual_mov_b32 v13, s41 :: v_dual_add_nc_u32 v12, s52, v2
	ds_load_b32 v12, v12
	ds_load_b32 v13, v13
	s_wait_dscnt 0x0
	v_fma_f32 v12, v12, v13, 0
.LBB1_33:                               ;   in Loop: Header=BB1_31 Depth=2
	s_or_b32 exec_lo, exec_lo, s40
	s_add_co_i32 s26, s26, 1
	s_delay_alu instid0(SALU_CYCLE_1)
	s_cmp_ge_i32 s26, s22
	; wave barrier
	s_cbranch_scc1 .LBB1_30
; %bb.34:                               ;   in Loop: Header=BB1_31 Depth=2
	v_lshl_add_u32 v13, s39, 2, v2
	v_mov_b32_e32 v21, v3
	s_mov_b32 s39, s38
	s_mov_b32 s40, s26
	s_branch .LBB1_36
.LBB1_35:                               ;   in Loop: Header=BB1_36 Depth=3
	s_or_b32 exec_lo, exec_lo, s41
	v_add_nc_u32_e32 v21, s50, v21
	s_add_co_i32 s40, s40, 1
	s_add_co_i32 s39, s39, 4
	s_cmp_eq_u32 s22, s40
	; wave barrier
	s_cbranch_scc1 .LBB1_30
.LBB1_36:                               ;   Parent Loop BB1_4 Depth=1
                                        ;     Parent Loop BB1_31 Depth=2
                                        ; =>    This Inner Loop Header: Depth=3
	s_mov_b32 s41, exec_lo
	v_cmpx_eq_u32_e64 s40, v0
	s_cbranch_execz .LBB1_38
; %bb.37:                               ;   in Loop: Header=BB1_36 Depth=3
	ds_load_b32 v22, v15
	s_wait_dscnt 0x0
	v_mul_f32_e64 v22, -v12, v22
	ds_store_b32 v13, v22
.LBB1_38:                               ;   in Loop: Header=BB1_36 Depth=3
	s_or_b32 exec_lo, exec_lo, s41
	s_delay_alu instid0(SALU_CYCLE_1)
	s_mov_b32 s41, exec_lo
	s_wait_dscnt 0x0
	; wave barrier
	v_cmpx_lt_u32_e64 s40, v0
	s_cbranch_execz .LBB1_35
; %bb.39:                               ;   in Loop: Header=BB1_36 Depth=3
	v_mov_b32_e32 v22, s39
	ds_load_b32 v23, v21
	ds_load_b32 v22, v22
	s_wait_dscnt 0x0
	v_fmac_f32_e32 v12, v23, v22
	s_branch .LBB1_35
.LBB1_40:                               ;   in Loop: Header=BB1_4 Depth=1
	s_and_saveexec_b32 s52, s0
	s_cbranch_execz .LBB1_2
; %bb.41:                               ;   in Loop: Header=BB1_4 Depth=1
	s_mul_u64 s[38:39], s[20:21], s[24:25]
	s_and_not1_b32 vcc_lo, exec_lo, s44
	s_mov_b32 s26, -1
	s_cbranch_vccnz .LBB1_50
; %bb.42:                               ;   in Loop: Header=BB1_4 Depth=1
	v_mov_b32_e32 v3, s45
	s_and_saveexec_b32 s53, s1
	s_cbranch_execz .LBB1_46
; %bb.43:                               ;   in Loop: Header=BB1_4 Depth=1
	s_mul_u64 s[40:41], s[12:13], s[24:25]
	v_mov_b32_e32 v3, v14
	v_lshl_add_u64 v[12:13], s[40:41], 2, v[6:7]
	s_mov_b32 s25, 0
	s_mov_b64 s[40:41], s[6:7]
.LBB1_44:                               ;   Parent Loop BB1_4 Depth=1
                                        ; =>  This Inner Loop Header: Depth=2
	s_delay_alu instid0(SALU_CYCLE_1)
	s_sub_co_i32 s26, s45, s40
	s_sub_co_i32 s54, s46, s41
	s_mul_i32 s26, s26, s33
	s_mul_i32 s54, s54, s42
	v_lshl_add_u32 v21, s26, 2, v17
	v_lshl_add_u32 v22, s54, 2, v17
	v_add_nc_u32_e32 v3, -2, v3
	s_mov_b32 s26, s40
	s_mov_b32 s54, s41
	ds_load_b32 v21, v21
	ds_load_b32 v26, v22
	s_mov_b32 s55, s27
	s_mul_u64 s[56:57], s[30:31], s[26:27]
	v_cmp_eq_u32_e32 vcc_lo, 0, v3
	s_mul_u64 s[54:55], s[10:11], s[54:55]
	v_lshl_add_u64 v[22:23], s[56:57], 2, v[12:13]
	v_lshl_add_u64 v[24:25], s[54:55], 2, v[12:13]
	s_add_co_i32 s41, s41, -2
	s_add_co_i32 s40, s40, -2
	s_or_b32 s25, vcc_lo, s25
	s_wait_dscnt 0x1
	global_store_b32 v[22:23], v21, off
	s_wait_dscnt 0x0
	global_store_b32 v[24:25], v26, off
	s_wait_xcnt 0x0
	s_and_not1_b32 exec_lo, exec_lo, s25
	s_cbranch_execnz .LBB1_44
; %bb.45:                               ;   in Loop: Header=BB1_4 Depth=1
	s_or_b32 exec_lo, exec_lo, s25
	v_mov_b32_e32 v3, v16
	s_or_not1_b32 s26, s2, exec_lo
.LBB1_46:                               ;   in Loop: Header=BB1_4 Depth=1
	s_or_b32 exec_lo, exec_lo, s53
	s_and_saveexec_b32 s25, s26
	s_cbranch_execz .LBB1_49
; %bb.47:                               ;   in Loop: Header=BB1_4 Depth=1
	v_mad_nc_u64_u32 v[12:13], s8, v3, s[38:39]
	v_lshlrev_b32_e32 v21, 2, v3
	s_mov_b32 s26, 0
	s_delay_alu instid0(VALU_DEP_2) | instskip(NEXT) | instid1(VALU_DEP_2)
	v_mad_u32 v13, s9, v3, v13
	v_dual_add_nc_u32 v3, 1, v3 :: v_dual_sub_nc_u32 v21, s50, v21
	s_delay_alu instid0(VALU_DEP_1) | instskip(NEXT) | instid1(VALU_DEP_3)
	v_mad_u32 v21, s22, v21, v19
	v_add_nc_u64_e32 v[12:13], v[10:11], v[12:13]
.LBB1_48:                               ;   Parent Loop BB1_4 Depth=1
                                        ; =>  This Inner Loop Header: Depth=2
	ds_load_b32 v22, v21
	v_dual_add_nc_u32 v3, -1, v3 :: v_dual_add_nc_u32 v21, s50, v21
	s_delay_alu instid0(VALU_DEP_1)
	v_cmp_le_u32_e32 vcc_lo, v3, v0
	s_or_b32 s26, vcc_lo, s26
	s_wait_dscnt 0x0
	global_store_b32 v[12:13], v22, off
	s_wait_xcnt 0x0
	v_add_nc_u64_e32 v[12:13], s[36:37], v[12:13]
	s_and_not1_b32 exec_lo, exec_lo, s26
	s_cbranch_execnz .LBB1_48
.LBB1_49:                               ;   in Loop: Header=BB1_4 Depth=1
	s_or_b32 exec_lo, exec_lo, s25
	s_mov_b32 s26, 0
.LBB1_50:                               ;   in Loop: Header=BB1_4 Depth=1
	s_delay_alu instid0(SALU_CYCLE_1)
	s_and_not1_b32 vcc_lo, exec_lo, s26
	s_cbranch_vccnz .LBB1_2
; %bb.51:                               ;   in Loop: Header=BB1_4 Depth=1
	v_mov_b32_e32 v21, 0
	s_mov_b32 s26, -1
	s_and_saveexec_b32 s25, s49
	s_cbranch_execz .LBB1_55
; %bb.52:                               ;   in Loop: Header=BB1_4 Depth=1
	v_add_nc_u64_e32 v[12:13], s[38:39], v[10:11]
	v_dual_mov_b32 v3, v2 :: v_dual_mov_b32 v21, v18
	s_mov_b32 s26, 0
.LBB1_53:                               ;   Parent Loop BB1_4 Depth=1
                                        ; =>  This Inner Loop Header: Depth=2
	ds_load_2addr_b32 v[22:23], v3 offset1:1
	v_dual_add_nc_u32 v21, -2, v21 :: v_dual_add_nc_u32 v3, 8, v3
	s_delay_alu instid0(VALU_DEP_1)
	v_cmp_eq_u32_e32 vcc_lo, 0, v21
	s_or_b32 s26, vcc_lo, s26
	s_wait_dscnt 0x0
	global_store_b64 v[12:13], v[22:23], off
	s_wait_xcnt 0x0
	v_add_nc_u64_e32 v[12:13], 8, v[12:13]
	s_and_not1_b32 exec_lo, exec_lo, s26
	s_cbranch_execnz .LBB1_53
; %bb.54:                               ;   in Loop: Header=BB1_4 Depth=1
	s_or_b32 exec_lo, exec_lo, s26
	v_mov_b32_e32 v21, v18
	s_or_not1_b32 s26, s3, exec_lo
.LBB1_55:                               ;   in Loop: Header=BB1_4 Depth=1
	s_or_b32 exec_lo, exec_lo, s25
	s_delay_alu instid0(SALU_CYCLE_1)
	s_and_b32 exec_lo, exec_lo, s26
	s_cbranch_execz .LBB1_2
; %bb.56:                               ;   in Loop: Header=BB1_4 Depth=1
	v_mad_nc_u64_u32 v[12:13], s8, v21, s[38:39]
	v_mad_u32 v3, s50, v21, v2
	s_mov_b32 s25, 0
	s_delay_alu instid0(VALU_DEP_2) | instskip(SKIP_1) | instid1(VALU_DEP_2)
	v_mad_i32_i24 v13, s9, v21, v13
	v_sub_nc_u32_e32 v21, v1, v21
	v_add_nc_u64_e32 v[12:13], v[10:11], v[12:13]
.LBB1_57:                               ;   Parent Loop BB1_4 Depth=1
                                        ; =>  This Inner Loop Header: Depth=2
	ds_load_b32 v22, v3
	v_dual_add_nc_u32 v21, -1, v21 :: v_dual_add_nc_u32 v3, s50, v3
	s_delay_alu instid0(VALU_DEP_1)
	v_cmp_eq_u32_e32 vcc_lo, 0, v21
	s_or_b32 s25, vcc_lo, s25
	s_wait_dscnt 0x0
	global_store_b32 v[12:13], v22, off
	s_wait_xcnt 0x0
	v_add_nc_u64_e32 v[12:13], s[8:9], v[12:13]
	s_and_not1_b32 exec_lo, exec_lo, s25
	s_cbranch_execnz .LBB1_57
	s_branch .LBB1_2
.LBB1_58:
	s_endpgm
	.section	.rodata,"a",@progbits
	.p2align	6, 0x0
	.amdhsa_kernel _ZL26rocblas_trtri_small_kernelILi16EfPKfPfEv13rocblas_fill_17rocblas_diagonal_iT1_lillT2_lilli
		.amdhsa_group_segment_fixed_size 1024
		.amdhsa_private_segment_fixed_size 0
		.amdhsa_kernarg_size 100
		.amdhsa_user_sgpr_count 2
		.amdhsa_user_sgpr_dispatch_ptr 0
		.amdhsa_user_sgpr_queue_ptr 0
		.amdhsa_user_sgpr_kernarg_segment_ptr 1
		.amdhsa_user_sgpr_dispatch_id 0
		.amdhsa_user_sgpr_kernarg_preload_length 0
		.amdhsa_user_sgpr_kernarg_preload_offset 0
		.amdhsa_user_sgpr_private_segment_size 0
		.amdhsa_wavefront_size32 1
		.amdhsa_uses_dynamic_stack 0
		.amdhsa_enable_private_segment 0
		.amdhsa_system_sgpr_workgroup_id_x 1
		.amdhsa_system_sgpr_workgroup_id_y 0
		.amdhsa_system_sgpr_workgroup_id_z 1
		.amdhsa_system_sgpr_workgroup_info 0
		.amdhsa_system_vgpr_workitem_id 0
		.amdhsa_next_free_vgpr 27
		.amdhsa_next_free_sgpr 60
		.amdhsa_named_barrier_count 0
		.amdhsa_reserve_vcc 1
		.amdhsa_float_round_mode_32 0
		.amdhsa_float_round_mode_16_64 0
		.amdhsa_float_denorm_mode_32 3
		.amdhsa_float_denorm_mode_16_64 3
		.amdhsa_fp16_overflow 0
		.amdhsa_memory_ordered 1
		.amdhsa_forward_progress 1
		.amdhsa_inst_pref_size 18
		.amdhsa_round_robin_scheduling 0
		.amdhsa_exception_fp_ieee_invalid_op 0
		.amdhsa_exception_fp_denorm_src 0
		.amdhsa_exception_fp_ieee_div_zero 0
		.amdhsa_exception_fp_ieee_overflow 0
		.amdhsa_exception_fp_ieee_underflow 0
		.amdhsa_exception_fp_ieee_inexact 0
		.amdhsa_exception_int_div_zero 0
	.end_amdhsa_kernel
	.section	.text._ZL26rocblas_trtri_small_kernelILi16EfPKfPfEv13rocblas_fill_17rocblas_diagonal_iT1_lillT2_lilli,"axG",@progbits,_ZL26rocblas_trtri_small_kernelILi16EfPKfPfEv13rocblas_fill_17rocblas_diagonal_iT1_lillT2_lilli,comdat
.Lfunc_end1:
	.size	_ZL26rocblas_trtri_small_kernelILi16EfPKfPfEv13rocblas_fill_17rocblas_diagonal_iT1_lillT2_lilli, .Lfunc_end1-_ZL26rocblas_trtri_small_kernelILi16EfPKfPfEv13rocblas_fill_17rocblas_diagonal_iT1_lillT2_lilli
                                        ; -- End function
	.set _ZL26rocblas_trtri_small_kernelILi16EfPKfPfEv13rocblas_fill_17rocblas_diagonal_iT1_lillT2_lilli.num_vgpr, 27
	.set _ZL26rocblas_trtri_small_kernelILi16EfPKfPfEv13rocblas_fill_17rocblas_diagonal_iT1_lillT2_lilli.num_agpr, 0
	.set _ZL26rocblas_trtri_small_kernelILi16EfPKfPfEv13rocblas_fill_17rocblas_diagonal_iT1_lillT2_lilli.numbered_sgpr, 60
	.set _ZL26rocblas_trtri_small_kernelILi16EfPKfPfEv13rocblas_fill_17rocblas_diagonal_iT1_lillT2_lilli.num_named_barrier, 0
	.set _ZL26rocblas_trtri_small_kernelILi16EfPKfPfEv13rocblas_fill_17rocblas_diagonal_iT1_lillT2_lilli.private_seg_size, 0
	.set _ZL26rocblas_trtri_small_kernelILi16EfPKfPfEv13rocblas_fill_17rocblas_diagonal_iT1_lillT2_lilli.uses_vcc, 1
	.set _ZL26rocblas_trtri_small_kernelILi16EfPKfPfEv13rocblas_fill_17rocblas_diagonal_iT1_lillT2_lilli.uses_flat_scratch, 0
	.set _ZL26rocblas_trtri_small_kernelILi16EfPKfPfEv13rocblas_fill_17rocblas_diagonal_iT1_lillT2_lilli.has_dyn_sized_stack, 0
	.set _ZL26rocblas_trtri_small_kernelILi16EfPKfPfEv13rocblas_fill_17rocblas_diagonal_iT1_lillT2_lilli.has_recursion, 0
	.set _ZL26rocblas_trtri_small_kernelILi16EfPKfPfEv13rocblas_fill_17rocblas_diagonal_iT1_lillT2_lilli.has_indirect_call, 0
	.section	.AMDGPU.csdata,"",@progbits
; Kernel info:
; codeLenInByte = 2208
; TotalNumSgprs: 62
; NumVgprs: 27
; ScratchSize: 0
; MemoryBound: 0
; FloatMode: 240
; IeeeMode: 1
; LDSByteSize: 1024 bytes/workgroup (compile time only)
; SGPRBlocks: 0
; VGPRBlocks: 1
; NumSGPRsForWavesPerEU: 62
; NumVGPRsForWavesPerEU: 27
; NamedBarCnt: 0
; Occupancy: 16
; WaveLimiterHint : 0
; COMPUTE_PGM_RSRC2:SCRATCH_EN: 0
; COMPUTE_PGM_RSRC2:USER_SGPR: 2
; COMPUTE_PGM_RSRC2:TRAP_HANDLER: 0
; COMPUTE_PGM_RSRC2:TGID_X_EN: 1
; COMPUTE_PGM_RSRC2:TGID_Y_EN: 0
; COMPUTE_PGM_RSRC2:TGID_Z_EN: 1
; COMPUTE_PGM_RSRC2:TIDIG_COMP_CNT: 0
	.section	.text._ZL29rocblas_trtri_diagonal_kernelILi16EfPKfPfEv13rocblas_fill_17rocblas_diagonal_iT1_lillT2_lilli,"axG",@progbits,_ZL29rocblas_trtri_diagonal_kernelILi16EfPKfPfEv13rocblas_fill_17rocblas_diagonal_iT1_lillT2_lilli,comdat
	.globl	_ZL29rocblas_trtri_diagonal_kernelILi16EfPKfPfEv13rocblas_fill_17rocblas_diagonal_iT1_lillT2_lilli ; -- Begin function _ZL29rocblas_trtri_diagonal_kernelILi16EfPKfPfEv13rocblas_fill_17rocblas_diagonal_iT1_lillT2_lilli
	.p2align	8
	.type	_ZL29rocblas_trtri_diagonal_kernelILi16EfPKfPfEv13rocblas_fill_17rocblas_diagonal_iT1_lillT2_lilli,@function
_ZL29rocblas_trtri_diagonal_kernelILi16EfPKfPfEv13rocblas_fill_17rocblas_diagonal_iT1_lillT2_lilli: ; @_ZL29rocblas_trtri_diagonal_kernelILi16EfPKfPfEv13rocblas_fill_17rocblas_diagonal_iT1_lillT2_lilli
; %bb.0:
	s_load_b32 s33, s[0:1], 0x60
	s_bfe_u32 s2, ttmp6, 0x40014
	s_lshr_b32 s3, ttmp7, 16
	s_add_co_i32 s2, s2, 1
	s_bfe_u32 s4, ttmp6, 0x40008
	s_mul_i32 s2, s3, s2
	s_getreg_b32 s9, hwreg(HW_REG_IB_STS2, 6, 4)
	s_add_co_i32 s4, s4, s2
	s_cmp_eq_u32 s9, 0
	s_mov_b32 s29, 0
	s_cselect_b32 s10, s3, s4
	s_wait_kmcnt 0x0
	s_cmp_ge_u32 s10, s33
	s_cbranch_scc1 .LBB2_102
; %bb.1:
	s_clause 0x5
	s_load_b32 s30, s[0:1], 0x20
	s_load_b32 s34, s[0:1], 0x48
	s_load_b96 s[4:6], s[0:1], 0x0
	s_load_b128 s[20:23], s[0:1], 0x50
	s_load_b128 s[24:27], s[0:1], 0x10
	s_load_b256 s[12:19], s[0:1], 0x28
	s_wait_xcnt 0x0
	s_mov_b32 s1, s29
	s_wait_kmcnt 0x0
	s_ashr_i32 s31, s30, 31
	s_mov_b32 s42, s34
	s_cmp_eq_u64 s[30:31], 1
	s_cselect_b32 s7, -1, 0
	s_ashr_i32 s35, s34, 31
	s_delay_alu instid0(SALU_CYCLE_1)
	s_cmp_eq_u64 s[34:35], 1
	s_mov_b32 s43, s35
	s_cselect_b32 s8, -1, 0
	s_ashr_i32 s2, s6, 31
	s_lshl_b64 s[56:57], s[18:19], 2
	s_lshr_b32 s2, s2, 27
	s_lshl_b64 s[46:47], s[26:27], 2
	s_add_co_i32 s0, s6, s2
	s_bfe_u32 s19, ttmp6, 0x4000c
	s_ashr_i32 s11, s0, 5
	s_add_co_i32 s19, s19, 1
	s_cvt_f32_u32 s0, s11
	s_sub_co_i32 s26, 0, s11
	s_and_b32 s18, ttmp6, 15
	s_mul_i32 s19, ttmp9, s19
	v_rcp_iflag_f32_e32 v1, s0
	s_lshl_b64 s[2:3], s[30:31], 5
	s_add_co_i32 s18, s18, s19
	s_add_nc_u64 s[2:3], s[2:3], 32
	s_mov_b32 s19, s29
	s_add_nc_u64 s[36:37], s[24:25], s[46:47]
	v_nop
	v_readfirstlane_b32 s0, v1
	v_cvt_f32_ubyte0_e32 v1, v0
	s_mul_f32 s0, s0, 0x4f7ffffe
	s_delay_alu instid0(SALU_CYCLE_3) | instskip(NEXT) | instid1(SALU_CYCLE_3)
	s_cvt_u32_f32 s0, s0
	s_mul_i32 s26, s26, s0
	s_delay_alu instid0(SALU_CYCLE_1) | instskip(NEXT) | instid1(SALU_CYCLE_1)
	s_mul_hi_u32 s26, s0, s26
	s_add_co_i32 s0, s0, s26
	s_cmp_eq_u32 s9, 0
	s_add_nc_u64 s[26:27], s[16:17], s[56:57]
	s_cselect_b32 s9, ttmp9, s18
	s_delay_alu instid0(SALU_CYCLE_1) | instskip(NEXT) | instid1(SALU_CYCLE_1)
	s_mul_hi_u32 s0, s9, s0
	s_mul_i32 s18, s0, s11
	s_add_co_i32 s28, s0, 1
	s_sub_co_i32 s18, s9, s18
	s_delay_alu instid0(SALU_CYCLE_1)
	s_sub_co_i32 s38, s18, s11
	s_cmp_ge_u32 s18, s11
	s_cselect_b32 s0, s28, s0
	s_cselect_b32 s18, s38, s18
	s_add_co_i32 s28, s0, 1
	s_cmp_ge_u32 s18, s11
	s_cselect_b32 s0, s28, s0
	s_lshl_b64 s[38:39], s[34:35], 5
	s_mul_i32 s11, s0, s11
	s_mul_u64 s[14:15], s[14:15], s[0:1]
	s_sub_co_i32 s28, s9, s11
	s_add_nc_u64 s[38:39], s[38:39], 32
	s_mul_u64 s[0:1], s[22:23], s[0:1]
	s_lshl_b32 s9, s28, 4
	s_lshl_b64 s[58:59], s[0:1], 2
	s_mul_u64 s[0:1], s[2:3], s[28:29]
	s_mul_u64 s[2:3], s[38:39], s[28:29]
	s_sub_co_i32 s11, s6, s9
	s_lshl_b64 s[48:49], s[14:15], 2
	s_lshl_b64 s[50:51], s[0:1], 2
	;; [unrolled: 1-line block ×3, first 2 shown]
	s_min_u32 s18, s11, 16
	s_cmp_lg_u32 s6, s9
	s_add_nc_u64 s[2:3], s[26:27], s[60:61]
	v_cvt_f32_ubyte0_e32 v8, s18
	s_cselect_b32 s62, -1, 0
	s_lshl_b32 s6, s18, 1
	v_dual_mov_b32 v3, 0 :: v_dual_mov_b32 v2, s18
	s_add_nc_u64 s[22:23], s[2:3], s[58:59]
	v_cmp_gt_u32_e64 s2, s6, v0
	v_rcp_iflag_f32_e32 v6, v8
	v_cmp_gt_u32_e32 vcc_lo, s18, v0
	s_add_nc_u64 s[0:1], s[36:37], s[50:51]
	s_mul_u64 s[26:27], s[18:19], s[30:31]
	v_cndmask_b32_e64 v2, s6, v2, s2
	v_cndmask_b32_e64 v4, 0, 0xc00, s2
	s_mul_u64 s[36:37], s[18:19], s[34:35]
	s_add_nc_u64 s[38:39], s[26:27], s[18:19]
	s_add_nc_u64 s[40:41], s[36:37], s[18:19]
	v_cndmask_b32_e64 v49, v2, 0, vcc_lo
	v_mul_f32_e32 v6, v1, v6
	v_cndmask_b32_e64 v9, v4, 0x800, vcc_lo
	v_cndmask_b32_e64 v13, s39, 0, vcc_lo
	;; [unrolled: 1-line block ×3, first 2 shown]
	v_add_nc_u32_e32 v17, s18, v49
	v_trunc_f32_e32 v10, v6
	v_sub_nc_u32_e32 v6, v0, v49
	v_cndmask_b32_e64 v5, s41, 0, vcc_lo
	v_cndmask_b32_e64 v4, s40, 0, vcc_lo
	s_cmp_lg_u32 s4, 0x7a
	s_delay_alu instid0(VALU_DEP_3) | instskip(SKIP_3) | instid1(VALU_DEP_2)
	v_dual_fma_f32 v1, -v10, v8, v1 :: v_dual_ashrrev_i32 v7, 31, v6
	v_cvt_u32_f32_e32 v10, v10
	s_cselect_b32 s19, -1, 0
	s_add_co_i32 s63, s18, -1
	v_cmp_ge_f32_e64 vcc_lo, |v1|, v8
	s_cmp_lg_u32 s5, 0x84
	v_sub_nc_u32_e32 v18, v17, v0
	s_cselect_b32 s64, -1, 0
	s_add_co_i32 s65, s18, 1
	v_add_co_ci_u32_e64 v1, null, 0, v10, vcc_lo
	s_cmp_gt_u32 s11, 1
	s_add_nc_u64 s[14:15], s[0:1], s[48:49]
	s_cselect_b32 s66, -1, 0
	v_mul_lo_u16 v8, v1, s18
	s_and_b32 s67, s18, 30
	s_add_nc_u64 s[48:49], s[48:49], s[50:51]
	s_mov_b32 s28, s63
	s_and_b32 s68, s18, 1
	v_sub_nc_u16 v8, v0, v8
	v_lshlrev_b64_e32 v[20:21], 2, v[12:13]
	s_cmp_lg_u32 s18, s67
	s_add_nc_u64 s[54:55], s[48:49], s[46:47]
	s_mul_u64 s[46:47], s[30:31], s[28:29]
	v_and_b32_e32 v8, 0xffff, v8
	v_dual_lshlrev_b32 v22, 2, v0 :: v_dual_bitop2_b32 v31, -2, v18 bitop3:0x40
	v_mov_b32_e32 v23, v3
	s_cselect_b32 s70, -1, 0
	s_lshl_b64 s[46:47], s[46:47], 2
	v_dual_mov_b32 v2, v6 :: v_dual_add_nc_u32 v15, 1, v6
	s_add_nc_u64 s[46:47], s[54:55], s[46:47]
	v_cmp_le_u32_e64 s3, s6, v0
	s_and_b32 s71, s66, s7
	v_dual_lshlrev_b32 v34, 2, v8 :: v_dual_sub_nc_u32 v32, s63, v31
	v_cmp_lt_u32_e64 s6, 1, v18
	v_cmp_ne_u32_e64 s7, v18, v31
	v_add_nc_u64_e32 v[18:19], s[54:55], v[22:23]
	v_add_nc_u64_e32 v[26:27], s[46:47], v[20:21]
	v_mul_i32_i24_e32 v14, s65, v6
	v_cmp_lt_u32_e32 vcc_lo, 1, v15
	v_and_b32_e32 v10, 0xffff, v1
	v_dual_lshlrev_b32 v24, 2, v49 :: v_dual_bitop2_b32 v33, -2, v15 bitop3:0x40
	v_mov_b32_e32 v25, v3
	v_lshl_add_u32 v30, v14, 2, v9
	s_and_b32 s73, vcc_lo, s8
	v_lshlrev_b32_e32 v36, 6, v10
	v_cmp_ne_u32_e64 s8, v15, v33
	v_sub_nc_u64_e32 v[14:15], v[18:19], v[24:25]
	v_add_nc_u64_e32 v[26:27], v[26:27], v[22:23]
	v_add_nc_u64_e32 v[18:19], v[18:19], v[20:21]
	v_dual_add_nc_u32 v16, s18, v6 :: v_dual_sub_nc_u32 v11, s63, v6
	v_sub_nc_u32_e32 v37, v22, v24
	v_add_nc_u32_e32 v50, s18, v8
	v_add_nc_u64_e32 v[14:15], s[24:25], v[14:15]
	v_sub_nc_u64_e32 v[20:21], v[26:27], v[24:25]
	v_lshl_add_u32 v29, v11, 2, v9
	v_mov_b32_e32 v11, v3
	v_sub_nc_u64_e32 v[26:27], v[18:19], v[24:25]
	s_add_nc_u64 s[54:55], s[24:25], s[54:55]
	s_lshl_b32 s46, s18, 2
	v_cmp_gt_u16_e64 s9, 16, v1
	v_mul_u64_e32 v[12:13], s[34:35], v[10:11]
	v_add_nc_u32_e32 v11, v9, v37
	v_dual_lshlrev_b32 v37, 2, v17 :: v_dual_ashrrev_i32 v17, 31, v16
	v_add_nc_u64_e32 v[18:19], s[24:25], v[20:21]
	v_add_nc_u64_e32 v[20:21], s[24:25], v[26:27]
	s_add_nc_u64 s[24:25], s[58:59], s[60:61]
	s_delay_alu instid0(VALU_DEP_3)
	v_dual_sub_nc_u32 v37, v37, v22 :: v_dual_add_nc_u32 v38, s46, v22
	s_add_nc_u64 s[24:25], s[56:57], s[24:25]
	v_sub_nc_u32_e32 v39, s46, v34
	v_lshl_add_u64 v[26:27], v[4:5], 2, s[24:25]
	v_mul_u32_u24_e32 v1, s18, v10
	v_dual_sub_nc_u32 v40, v38, v24 :: v_dual_add_nc_u32 v41, -1, v10
	s_delay_alu instid0(VALU_DEP_4) | instskip(NEXT) | instid1(VALU_DEP_4)
	v_mul_lo_u32 v44, s18, v39
	v_add_nc_u64_e32 v[22:23], v[26:27], v[22:23]
	s_delay_alu instid0(VALU_DEP_4)
	v_lshlrev_b32_e32 v1, 2, v1
	s_mul_i32 s0, s18, 3
	s_mul_i32 s1, s18, s18
	s_movk_i32 s11, 0x44
	v_cmp_gt_u32_e64 s0, s0, v0
	v_cmp_gt_u32_e64 s1, s1, v0
	v_sub_nc_u64_e32 v[22:23], v[22:23], v[24:25]
	v_lshl_add_u64 v[24:25], v[2:3], 2, v[26:27]
	v_lshl_add_u32 v28, v6, 2, v9
	v_sub_nc_u32_e32 v46, v44, v34
	v_cmp_gt_i32_e64 s4, s18, v6
	v_cmp_lt_i32_e64 s5, -1, v6
	v_add_nc_u64_e32 v[24:25], s[16:17], v[24:25]
	v_add_nc_u64_e32 v[22:23], s[16:17], v[22:23]
	v_add_nc_u32_e32 v35, 0x400, v34
	v_lshl_add_u64 v[16:17], v[16:17], 2, s[54:55]
	v_add3_u32 v37, v37, v9, -4
	v_dual_add_nc_u32 v39, v9, v40 :: v_dual_bitop2_b32 v38, 4, v9 bitop3:0x54
	v_sub_nc_u32_e32 v40, 0xffc, v36
	v_mad_u32_u24 v42, v10, s11, 0x800
	v_dual_add_nc_u32 v43, v36, v34 :: v_dual_add_nc_u32 v44, -1, v8
	v_add3_u32 v45, v1, v34, 0x400
	v_add_nc_u32_e32 v47, 0x400, v1
	v_add_nc_u32_e32 v48, 0xc00, v34
	v_xad_u32 v49, v0, -1, v49
	v_lshlrev_b32_e32 v0, 2, v8
	v_add_nc_u32_e32 v46, 0x7fc, v46
	v_lshlrev_b32_e32 v2, 2, v50
	s_lshl_b64 s[50:51], s[30:31], 2
	s_lshl_b64 s[16:17], s[34:35], 2
	s_mov_b32 s38, s30
	s_mov_b32 s39, s31
	;; [unrolled: 1-line block ×6, first 2 shown]
	s_add_co_i32 s45, s18, -2
	s_mov_b32 s44, s63
	s_sub_co_i32 s74, 0, s46
	s_lshl_b64 s[48:49], s[12:13], 2
	s_mov_b32 s47, s29
	s_sub_nc_u64 s[52:53], 0, s[50:51]
	s_mov_b64 s[54:55], s[28:29]
	s_add_co_i32 s75, s46, 4
	s_lshl_b64 s[24:25], s[20:21], 2
	s_sub_nc_u64 s[56:57], 0, s[16:17]
	s_branch .LBB2_4
.LBB2_2:                                ;   in Loop: Header=BB2_4 Depth=1
	s_or_b32 exec_lo, exec_lo, s28
.LBB2_3:                                ;   in Loop: Header=BB2_4 Depth=1
	s_add_co_i32 s10, s10, 0x10000
	s_delay_alu instid0(SALU_CYCLE_1)
	s_cmp_lt_u32 s10, s33
	s_cbranch_scc0 .LBB2_102
.LBB2_4:                                ; =>This Loop Header: Depth=1
                                        ;     Child Loop BB2_10 Depth 2
                                        ;     Child Loop BB2_15 Depth 2
	;; [unrolled: 1-line block ×7, first 2 shown]
                                        ;       Child Loop BB2_52 Depth 3
                                        ;     Child Loop BB2_59 Depth 2
                                        ;     Child Loop BB2_66 Depth 2
	;; [unrolled: 1-line block ×8, first 2 shown]
	s_and_not1_b32 vcc_lo, exec_lo, s62
	s_cbranch_vccnz .LBB2_3
; %bb.5:                                ;   in Loop: Header=BB2_4 Depth=1
	s_mov_b32 s11, s29
	s_delay_alu instid0(SALU_CYCLE_1) | instskip(SKIP_1) | instid1(SALU_CYCLE_1)
	s_mul_u64 s[58:59], s[48:49], s[10:11]
	s_and_saveexec_b32 s28, s3
	s_xor_b32 s76, exec_lo, s28
	s_cbranch_execz .LBB2_26
; %bb.6:                                ;   in Loop: Header=BB2_4 Depth=1
	s_and_saveexec_b32 s77, s0
	s_cbranch_execz .LBB2_25
; %bb.7:                                ;   in Loop: Header=BB2_4 Depth=1
	s_and_not1_b32 vcc_lo, exec_lo, s19
	s_mov_b32 s28, -1
	s_cbranch_vccnz .LBB2_17
; %bb.8:                                ;   in Loop: Header=BB2_4 Depth=1
	s_mov_b32 s79, -1
	s_mov_b32 s78, s65
	s_and_not1_b32 vcc_lo, exec_lo, s66
	s_mov_b32 s28, s63
	s_mov_b64 s[60:61], s[54:55]
	s_cbranch_vccnz .LBB2_13
; %bb.9:                                ;   in Loop: Header=BB2_4 Depth=1
	s_mul_u64 s[60:61], s[12:13], s[10:11]
	s_lshl_b64 s[78:79], s[26:27], 2
	s_lshl_b64 s[60:61], s[60:61], 2
	s_delay_alu instid0(SALU_CYCLE_1) | instskip(NEXT) | instid1(SALU_CYCLE_1)
	s_add_nc_u64 s[60:61], s[14:15], s[60:61]
	s_add_nc_u64 s[60:61], s[60:61], s[78:79]
	s_mov_b32 s78, s67
	v_lshl_add_u64 v[26:27], v[6:7], 2, s[60:61]
	s_mov_b64 s[60:61], s[40:41]
.LBB2_10:                               ;   Parent Loop BB2_4 Depth=1
                                        ; =>  This Inner Loop Header: Depth=2
	s_delay_alu instid0(SALU_CYCLE_1)
	s_add_co_i32 s28, s60, -1
	s_add_co_i32 s80, s61, -1
	s_mov_b32 s81, s29
	s_mul_u64 s[82:83], s[30:31], s[28:29]
	s_mul_u64 s[84:85], s[38:39], s[80:81]
	v_lshl_add_u64 v[50:51], s[82:83], 2, v[26:27]
	v_lshl_add_u64 v[52:53], s[84:85], 2, v[26:27]
	s_mul_i32 s28, s28, s18
	s_mul_i32 s79, s80, s69
	s_clause 0x1
	global_load_b32 v1, v[50:51], off
	global_load_b32 v50, v[52:53], off
	v_lshl_add_u32 v51, s28, 2, v28
	s_wait_xcnt 0x0
	v_lshl_add_u32 v52, s79, 2, v28
	s_add_co_i32 s78, s78, -2
	s_add_co_i32 s61, s61, -2
	;; [unrolled: 1-line block ×3, first 2 shown]
	s_cmp_lg_u32 s78, 0
	s_wait_loadcnt 0x1
	ds_store_b32 v51, v1
	s_wait_loadcnt 0x0
	ds_store_b32 v52, v50
	s_cbranch_scc1 .LBB2_10
; %bb.11:                               ;   in Loop: Header=BB2_4 Depth=1
	s_and_not1_b32 vcc_lo, exec_lo, s70
	s_mov_b32 s79, 0
                                        ; implicit-def: $sgpr78
                                        ; implicit-def: $sgpr60_sgpr61
	s_cbranch_vccnz .LBB2_13
; %bb.12:                               ;   in Loop: Header=BB2_4 Depth=1
	s_add_co_i32 s28, s68, -1
	s_add_co_i32 s78, s68, 1
	s_mov_b32 s79, -1
	s_mov_b64 s[60:61], s[28:29]
.LBB2_13:                               ;   in Loop: Header=BB2_4 Depth=1
	s_and_b32 vcc_lo, exec_lo, s79
	s_cbranch_vccz .LBB2_16
; %bb.14:                               ;   in Loop: Header=BB2_4 Depth=1
	s_lshl_b64 s[60:61], s[60:61], 2
	v_mad_u32 v1, s46, s28, v11
	s_add_nc_u64 s[60:61], s[46:47], s[60:61]
	s_delay_alu instid0(SALU_CYCLE_1) | instskip(NEXT) | instid1(SALU_CYCLE_1)
	s_mul_u64 s[60:61], s[30:31], s[60:61]
	s_add_nc_u64 s[60:61], s[58:59], s[60:61]
	s_delay_alu instid0(SALU_CYCLE_1)
	v_add_nc_u64_e32 v[26:27], s[60:61], v[14:15]
.LBB2_15:                               ;   Parent Loop BB2_4 Depth=1
                                        ; =>  This Inner Loop Header: Depth=2
	global_load_b32 v50, v[26:27], off
	s_wait_xcnt 0x0
	v_add_nc_u64_e32 v[26:27], s[52:53], v[26:27]
	s_add_co_i32 s78, s78, -1
	s_delay_alu instid0(SALU_CYCLE_1)
	s_cmp_gt_u32 s78, 1
	s_wait_loadcnt 0x0
	ds_store_b32 v1, v50
	v_add_nc_u32_e32 v1, s74, v1
	s_cbranch_scc1 .LBB2_15
.LBB2_16:                               ;   in Loop: Header=BB2_4 Depth=1
	s_mov_b32 s28, 0
.LBB2_17:                               ;   in Loop: Header=BB2_4 Depth=1
	s_delay_alu instid0(SALU_CYCLE_1)
	s_and_not1_b32 vcc_lo, exec_lo, s28
	s_cbranch_vccnz .LBB2_25
; %bb.18:                               ;   in Loop: Header=BB2_4 Depth=1
	s_and_not1_b32 vcc_lo, exec_lo, s71
	s_cbranch_vccnz .LBB2_22
; %bb.19:                               ;   in Loop: Header=BB2_4 Depth=1
	v_add_nc_u64_e32 v[26:27], s[58:59], v[16:17]
	s_mov_b32 s60, 1
	s_mov_b32 s61, 0
	;; [unrolled: 1-line block ×3, first 2 shown]
.LBB2_20:                               ;   Parent Loop BB2_4 Depth=1
                                        ; =>  This Inner Loop Header: Depth=2
	global_load_b64 v[50:51], v[26:27], off
	s_mul_i32 s79, s61, s18
	s_wait_xcnt 0x0
	v_add_nc_u64_e32 v[26:27], 8, v[26:27]
	s_mul_i32 s28, s60, s69
	v_lshl_add_u32 v1, s79, 2, v28
	s_add_co_i32 s78, s78, -2
	v_lshl_add_u32 v52, s28, 2, v28
	s_add_co_i32 s61, s61, 2
	s_add_co_i32 s60, s60, 2
	s_mov_b32 s28, s67
	s_mov_b32 s79, s70
	s_cmp_lg_u32 s78, 0
	s_wait_loadcnt 0x0
	ds_store_b32 v1, v50
	ds_store_b32 v52, v51
	s_cbranch_scc1 .LBB2_20
; %bb.21:                               ;   in Loop: Header=BB2_4 Depth=1
	s_and_b32 vcc_lo, exec_lo, s79
	s_cbranch_vccnz .LBB2_23
	s_branch .LBB2_25
.LBB2_22:                               ;   in Loop: Header=BB2_4 Depth=1
	s_mov_b32 s28, 0
	s_cbranch_execz .LBB2_25
.LBB2_23:                               ;   in Loop: Header=BB2_4 Depth=1
	v_mad_u32 v1, s46, s28, v11
	s_mul_u64 s[60:61], s[50:51], s[28:29]
	s_sub_co_i32 s28, s18, s28
	s_add_nc_u64 s[60:61], s[60:61], s[58:59]
	s_delay_alu instid0(SALU_CYCLE_1)
	v_add_nc_u64_e32 v[26:27], s[60:61], v[16:17]
.LBB2_24:                               ;   Parent Loop BB2_4 Depth=1
                                        ; =>  This Inner Loop Header: Depth=2
	global_load_b32 v50, v[26:27], off
	s_wait_xcnt 0x0
	v_add_nc_u64_e32 v[26:27], s[50:51], v[26:27]
	s_add_co_i32 s28, s28, -1
	s_delay_alu instid0(SALU_CYCLE_1)
	s_cmp_eq_u32 s28, 0
	s_wait_loadcnt 0x0
	ds_store_b32 v1, v50
	v_add_nc_u32_e32 v1, s46, v1
	s_cbranch_scc0 .LBB2_24
.LBB2_25:                               ;   in Loop: Header=BB2_4 Depth=1
	s_or_b32 exec_lo, exec_lo, s77
.LBB2_26:                               ;   in Loop: Header=BB2_4 Depth=1
	s_and_not1_saveexec_b32 s28, s76
	s_cbranch_execz .LBB2_38
; %bb.27:                               ;   in Loop: Header=BB2_4 Depth=1
	s_and_b32 vcc_lo, exec_lo, s19
	s_mov_b32 s60, -1
	s_cbranch_vccz .LBB2_33
; %bb.28:                               ;   in Loop: Header=BB2_4 Depth=1
	v_add_nc_u64_e32 v[26:27], s[58:59], v[18:19]
	v_mov_b32_e32 v1, v37
	s_mov_b32 s60, s18
	s_branch .LBB2_30
.LBB2_29:                               ;   in Loop: Header=BB2_30 Depth=2
	s_wait_xcnt 0x0
	s_or_b32 exec_lo, exec_lo, s61
	v_add_nc_u64_e32 v[26:27], s[52:53], v[26:27]
	s_wait_loadcnt 0x0
	ds_store_b32 v1, v50
	v_add_nc_u32_e32 v1, s46, v1
	s_cmp_lt_i32 s60, 1
	s_cbranch_scc1 .LBB2_32
.LBB2_30:                               ;   Parent Loop BB2_4 Depth=1
                                        ; =>  This Inner Loop Header: Depth=2
	v_mov_b32_e32 v50, 0
	s_add_co_i32 s60, s60, -1
	s_mov_b32 s61, exec_lo
	v_cmpx_ge_i32_e64 s60, v6
	s_cbranch_execz .LBB2_29
; %bb.31:                               ;   in Loop: Header=BB2_30 Depth=2
	global_load_b32 v50, v[26:27], off
	s_branch .LBB2_29
.LBB2_32:                               ;   in Loop: Header=BB2_4 Depth=1
	s_mov_b32 s60, 0
.LBB2_33:                               ;   in Loop: Header=BB2_4 Depth=1
	s_delay_alu instid0(SALU_CYCLE_1)
	s_and_b32 vcc_lo, exec_lo, s60
	s_cbranch_vccz .LBB2_38
; %bb.34:                               ;   in Loop: Header=BB2_4 Depth=1
	v_add_nc_u64_e32 v[26:27], s[58:59], v[20:21]
	v_mov_b32_e32 v1, v28
	s_mov_b32 s58, 0
	s_branch .LBB2_36
.LBB2_35:                               ;   in Loop: Header=BB2_36 Depth=2
	s_wait_xcnt 0x0
	s_or_b32 exec_lo, exec_lo, s59
	v_add_nc_u64_e32 v[26:27], s[50:51], v[26:27]
	s_wait_loadcnt 0x0
	ds_store_b32 v1, v50
	v_add_nc_u32_e32 v1, s46, v1
	s_add_co_i32 s58, s58, 1
	s_delay_alu instid0(SALU_CYCLE_1)
	s_cmp_eq_u32 s18, s58
	s_cbranch_scc1 .LBB2_38
.LBB2_36:                               ;   Parent Loop BB2_4 Depth=1
                                        ; =>  This Inner Loop Header: Depth=2
	v_mov_b32_e32 v50, 0
	s_mov_b32 s59, exec_lo
	v_cmpx_le_i32_e64 s58, v6
	s_cbranch_execz .LBB2_35
; %bb.37:                               ;   in Loop: Header=BB2_36 Depth=2
	global_load_b32 v50, v[26:27], off
	s_branch .LBB2_35
.LBB2_38:                               ;   in Loop: Header=BB2_4 Depth=1
	s_or_b32 exec_lo, exec_lo, s28
	s_wait_dscnt 0x0
	s_barrier_signal -1
	s_barrier_wait -1
	s_and_saveexec_b32 s28, s2
	s_cbranch_execz .LBB2_44
; %bb.39:                               ;   in Loop: Header=BB2_4 Depth=1
	v_mov_b32_e32 v26, 1.0
	s_and_not1_b32 vcc_lo, exec_lo, s64
	s_cbranch_vccnz .LBB2_43
; %bb.40:                               ;   in Loop: Header=BB2_4 Depth=1
	ds_load_b32 v1, v30
	v_mov_b32_e32 v26, 1.0
	s_mov_b32 s58, exec_lo
	s_wait_dscnt 0x0
	v_cmpx_neq_f32_e32 0, v1
	s_cbranch_execz .LBB2_42
; %bb.41:                               ;   in Loop: Header=BB2_4 Depth=1
	v_div_scale_f32 v26, null, v1, v1, 1.0
	s_delay_alu instid0(VALU_DEP_1) | instskip(SKIP_1) | instid1(TRANS32_DEP_1)
	v_rcp_f32_e32 v27, v26
	v_nop
	v_fma_f32 v50, -v26, v27, 1.0
	s_delay_alu instid0(VALU_DEP_1) | instskip(SKIP_1) | instid1(VALU_DEP_1)
	v_fmac_f32_e32 v27, v50, v27
	v_div_scale_f32 v50, vcc_lo, 1.0, v1, 1.0
	v_mul_f32_e32 v51, v50, v27
	s_delay_alu instid0(VALU_DEP_1) | instskip(NEXT) | instid1(VALU_DEP_1)
	v_fma_f32 v52, -v26, v51, v50
	v_fmac_f32_e32 v51, v52, v27
	s_delay_alu instid0(VALU_DEP_1) | instskip(NEXT) | instid1(VALU_DEP_1)
	v_fma_f32 v26, -v26, v51, v50
	v_div_fmas_f32 v26, v26, v27, v51
	s_delay_alu instid0(VALU_DEP_1)
	v_div_fixup_f32 v26, v26, v1, 1.0
.LBB2_42:                               ;   in Loop: Header=BB2_4 Depth=1
	s_or_b32 exec_lo, exec_lo, s58
.LBB2_43:                               ;   in Loop: Header=BB2_4 Depth=1
	ds_store_b32 v30, v26
.LBB2_44:                               ;   in Loop: Header=BB2_4 Depth=1
	s_or_b32 exec_lo, exec_lo, s28
	s_wait_dscnt 0x0
	s_barrier_signal -1
	s_barrier_wait -1
	s_and_saveexec_b32 s28, s2
	s_cbranch_execz .LBB2_56
; %bb.45:                               ;   in Loop: Header=BB2_4 Depth=1
	v_dual_mov_b32 v1, v39 :: v_dual_mov_b32 v26, v38
	s_mov_b32 s58, 0
	s_branch .LBB2_47
.LBB2_46:                               ;   in Loop: Header=BB2_47 Depth=2
	v_dual_add_nc_u32 v26, s75, v26 :: v_dual_add_nc_u32 v1, s46, v1
	s_cmp_eq_u32 s58, s18
	s_cbranch_scc1 .LBB2_56
.LBB2_47:                               ;   Parent Loop BB2_4 Depth=1
                                        ; =>  This Loop Header: Depth=2
                                        ;       Child Loop BB2_52 Depth 3
	v_mov_b32_e32 v27, 0
	s_mul_i32 s59, s58, s18
	s_mov_b32 s60, exec_lo
	v_cmpx_lt_i32_e64 s58, v6
	s_cbranch_execz .LBB2_49
; %bb.48:                               ;   in Loop: Header=BB2_47 Depth=2
	s_lshl_b32 s61, s59, 2
	s_lshl_b32 s76, s58, 2
	v_add_nc_u32_e32 v27, s61, v28
	v_add3_u32 v50, s61, s76, v9
	ds_load_b32 v27, v27
	ds_load_b32 v50, v50
	s_wait_dscnt 0x0
	v_fma_f32 v27, v27, v50, 0
.LBB2_49:                               ;   in Loop: Header=BB2_47 Depth=2
	s_or_b32 exec_lo, exec_lo, s60
	s_add_co_i32 s58, s58, 1
	s_delay_alu instid0(SALU_CYCLE_1)
	s_cmp_ge_u32 s58, s18
	s_cbranch_scc1 .LBB2_46
; %bb.50:                               ;   in Loop: Header=BB2_47 Depth=2
	v_lshl_add_u32 v50, s59, 2, v28
	v_dual_mov_b32 v51, v1 :: v_dual_mov_b32 v52, v26
	s_mov_b32 s59, s58
	s_branch .LBB2_52
.LBB2_51:                               ;   in Loop: Header=BB2_52 Depth=3
	s_or_b32 exec_lo, exec_lo, s60
	v_dual_add_nc_u32 v52, 4, v52 :: v_dual_add_nc_u32 v51, s46, v51
	s_add_co_i32 s59, s59, 1
	s_delay_alu instid0(SALU_CYCLE_1)
	s_cmp_eq_u32 s18, s59
	s_cbranch_scc1 .LBB2_46
.LBB2_52:                               ;   Parent Loop BB2_4 Depth=1
                                        ;     Parent Loop BB2_47 Depth=2
                                        ; =>    This Inner Loop Header: Depth=3
	s_mov_b32 s60, exec_lo
	v_cmpx_eq_u32_e64 s59, v6
	s_cbranch_execz .LBB2_54
; %bb.53:                               ;   in Loop: Header=BB2_52 Depth=3
	ds_load_b32 v53, v30
	s_wait_dscnt 0x0
	v_mul_f32_e64 v53, -v27, v53
	ds_store_b32 v50, v53
.LBB2_54:                               ;   in Loop: Header=BB2_52 Depth=3
	s_or_b32 exec_lo, exec_lo, s60
	s_delay_alu instid0(SALU_CYCLE_1)
	s_mov_b32 s60, exec_lo
	v_cmpx_lt_i32_e64 s59, v6
	s_cbranch_execz .LBB2_51
; %bb.55:                               ;   in Loop: Header=BB2_52 Depth=3
	ds_load_b32 v53, v51
	ds_load_b32 v54, v52
	s_wait_dscnt 0x0
	v_fmac_f32_e32 v27, v53, v54
	s_branch .LBB2_51
.LBB2_56:                               ;   in Loop: Header=BB2_4 Depth=1
	s_or_b32 exec_lo, exec_lo, s28
	s_delay_alu instid0(SALU_CYCLE_1)
	s_and_b32 vcc_lo, exec_lo, s19
	s_mov_b32 s28, -1
	s_wait_dscnt 0x0
	s_barrier_signal -1
	s_barrier_wait -1
	s_cbranch_vccz .LBB2_62
; %bb.57:                               ;   in Loop: Header=BB2_4 Depth=1
	s_and_saveexec_b32 s28, s1
	s_cbranch_execz .LBB2_61
; %bb.58:                               ;   in Loop: Header=BB2_4 Depth=1
	v_dual_mov_b32 v1, 0 :: v_dual_mov_b32 v26, v34
	v_mov_b32_e32 v27, v40
	s_mov_b32 s59, -1
	s_mov_b32 s58, 0
.LBB2_59:                               ;   Parent Loop BB2_4 Depth=1
                                        ; =>  This Inner Loop Header: Depth=2
	ds_load_b32 v50, v26
	ds_load_b32 v51, v27
	s_add_co_i32 s59, s59, 1
	v_dual_add_nc_u32 v27, -4, v27 :: v_dual_add_nc_u32 v26, 64, v26
	v_cmp_ge_u32_e32 vcc_lo, s59, v10
	s_or_b32 s58, vcc_lo, s58
	s_wait_dscnt 0x0
	v_fmac_f32_e32 v1, v50, v51
	s_and_not1_b32 exec_lo, exec_lo, s58
	s_cbranch_execnz .LBB2_59
; %bb.60:                               ;   in Loop: Header=BB2_4 Depth=1
	s_or_b32 exec_lo, exec_lo, s58
	v_add_nc_u32_e32 v26, v35, v36
	ds_store_b32 v26, v1
.LBB2_61:                               ;   in Loop: Header=BB2_4 Depth=1
	s_or_b32 exec_lo, exec_lo, s28
	s_mov_b32 s28, 0
.LBB2_62:                               ;   in Loop: Header=BB2_4 Depth=1
	s_delay_alu instid0(SALU_CYCLE_1)
	s_and_not1_b32 vcc_lo, exec_lo, s28
	s_cbranch_vccnz .LBB2_70
; %bb.63:                               ;   in Loop: Header=BB2_4 Depth=1
	s_and_saveexec_b32 s28, s1
	s_cbranch_execz .LBB2_69
; %bb.64:                               ;   in Loop: Header=BB2_4 Depth=1
	v_mov_b32_e32 v1, 0
	s_and_saveexec_b32 s58, s9
	s_cbranch_execz .LBB2_68
; %bb.65:                               ;   in Loop: Header=BB2_4 Depth=1
	v_dual_mov_b32 v1, 0 :: v_dual_mov_b32 v26, v43
	v_dual_mov_b32 v27, v42 :: v_dual_mov_b32 v50, v41
	s_mov_b32 s59, 0
.LBB2_66:                               ;   Parent Loop BB2_4 Depth=1
                                        ; =>  This Inner Loop Header: Depth=2
	ds_load_b32 v51, v26
	ds_load_b32 v52, v27
	v_dual_add_nc_u32 v50, 1, v50 :: v_dual_add_nc_u32 v27, 4, v27
	v_add_nc_u32_e32 v26, 64, v26
	s_delay_alu instid0(VALU_DEP_2)
	v_cmp_lt_u32_e32 vcc_lo, 14, v50
	s_or_b32 s59, vcc_lo, s59
	s_wait_dscnt 0x0
	v_fmac_f32_e32 v1, v51, v52
	s_and_not1_b32 exec_lo, exec_lo, s59
	s_cbranch_execnz .LBB2_66
; %bb.67:                               ;   in Loop: Header=BB2_4 Depth=1
	s_or_b32 exec_lo, exec_lo, s59
.LBB2_68:                               ;   in Loop: Header=BB2_4 Depth=1
	s_delay_alu instid0(SALU_CYCLE_1)
	s_or_b32 exec_lo, exec_lo, s58
	v_add_nc_u32_e32 v26, v35, v36
	ds_store_b32 v26, v1
.LBB2_69:                               ;   in Loop: Header=BB2_4 Depth=1
	s_or_b32 exec_lo, exec_lo, s28
.LBB2_70:                               ;   in Loop: Header=BB2_4 Depth=1
	s_mul_u64 s[58:59], s[20:21], s[10:11]
	s_and_b32 vcc_lo, exec_lo, s19
	s_lshl_b64 s[58:59], s[58:59], 2
	s_mov_b32 s28, -1
	s_add_nc_u64 s[60:61], s[22:23], s[58:59]
	s_wait_dscnt 0x0
	s_barrier_signal -1
	s_barrier_wait -1
	s_cbranch_vccnz .LBB2_73
; %bb.71:                               ;   in Loop: Header=BB2_4 Depth=1
	s_and_not1_b32 vcc_lo, exec_lo, s28
	s_cbranch_vccz .LBB2_78
.LBB2_72:                               ;   in Loop: Header=BB2_4 Depth=1
	s_and_saveexec_b32 s28, s2
	s_cbranch_execz .LBB2_2
	s_branch .LBB2_83
.LBB2_73:                               ;   in Loop: Header=BB2_4 Depth=1
	s_and_saveexec_b32 s28, s1
	s_cbranch_execz .LBB2_77
; %bb.74:                               ;   in Loop: Header=BB2_4 Depth=1
	v_dual_mov_b32 v26, 0 :: v_dual_mov_b32 v1, v46
	v_dual_mov_b32 v27, v45 :: v_dual_mov_b32 v50, v44
	s_mov_b32 s58, 0
.LBB2_75:                               ;   Parent Loop BB2_4 Depth=1
                                        ; =>  This Inner Loop Header: Depth=2
	ds_load_b32 v51, v1
	ds_load_b32 v52, v27
	v_dual_add_nc_u32 v50, 1, v50 :: v_dual_add_nc_u32 v27, 4, v27
	v_add_nc_u32_e32 v1, s74, v1
	s_delay_alu instid0(VALU_DEP_2)
	v_cmp_lt_u32_e32 vcc_lo, 14, v50
	s_or_b32 s58, vcc_lo, s58
	s_wait_dscnt 0x0
	v_fma_f32 v26, -v51, v52, v26
	s_and_not1_b32 exec_lo, exec_lo, s58
	s_cbranch_execnz .LBB2_75
; %bb.76:                               ;   in Loop: Header=BB2_4 Depth=1
	s_or_b32 exec_lo, exec_lo, s58
	v_mov_b32_e32 v1, v3
	s_lshl_b64 s[58:59], s[36:37], 2
	s_delay_alu instid0(SALU_CYCLE_1)
	s_add_nc_u64 s[58:59], s[60:61], s[58:59]
	s_delay_alu instid0(VALU_DEP_1) | instid1(SALU_CYCLE_1)
	v_add_nc_u64_e32 v[50:51], s[58:59], v[0:1]
	s_delay_alu instid0(VALU_DEP_1)
	v_lshl_add_u64 v[50:51], v[12:13], 2, v[50:51]
	global_store_b32 v[50:51], v26, off
.LBB2_77:                               ;   in Loop: Header=BB2_4 Depth=1
	s_wait_xcnt 0x0
	s_or_b32 exec_lo, exec_lo, s28
	s_cbranch_execnz .LBB2_72
.LBB2_78:                               ;   in Loop: Header=BB2_4 Depth=1
	s_and_saveexec_b32 s28, s1
	s_cbranch_execz .LBB2_82
; %bb.79:                               ;   in Loop: Header=BB2_4 Depth=1
	v_dual_mov_b32 v1, 0 :: v_dual_mov_b32 v26, v48
	v_mov_b32_e32 v27, v47
	s_mov_b32 s59, -1
	s_mov_b32 s58, 0
.LBB2_80:                               ;   Parent Loop BB2_4 Depth=1
                                        ; =>  This Inner Loop Header: Depth=2
	ds_load_b32 v50, v26
	ds_load_b32 v51, v27
	s_add_co_i32 s59, s59, 1
	v_dual_add_nc_u32 v27, 4, v27 :: v_dual_add_nc_u32 v26, s46, v26
	v_cmp_ge_u32_e32 vcc_lo, s59, v8
	s_or_b32 s58, vcc_lo, s58
	s_wait_dscnt 0x0
	v_fma_f32 v1, -v50, v51, v1
	s_and_not1_b32 exec_lo, exec_lo, s58
	s_cbranch_execnz .LBB2_80
; %bb.81:                               ;   in Loop: Header=BB2_4 Depth=1
	s_or_b32 exec_lo, exec_lo, s58
	v_lshl_add_u64 v[26:27], v[12:13], 2, s[60:61]
	s_delay_alu instid0(VALU_DEP_1)
	v_add_nc_u64_e32 v[26:27], v[26:27], v[2:3]
	global_store_b32 v[26:27], v1, off
.LBB2_82:                               ;   in Loop: Header=BB2_4 Depth=1
	s_wait_xcnt 0x0
	s_or_b32 exec_lo, exec_lo, s28
	s_and_saveexec_b32 s28, s2
	s_cbranch_execz .LBB2_2
.LBB2_83:                               ;   in Loop: Header=BB2_4 Depth=1
	s_mul_u64 s[58:59], s[24:25], s[10:11]
	s_and_b32 vcc_lo, exec_lo, s19
	s_mov_b32 s11, -1
	s_cbranch_vccz .LBB2_93
; %bb.84:                               ;   in Loop: Header=BB2_4 Depth=1
	s_and_saveexec_b32 s11, s4
	s_cbranch_execz .LBB2_92
; %bb.85:                               ;   in Loop: Header=BB2_4 Depth=1
	v_mov_b32_e32 v1, s63
	s_mov_b32 s77, -1
	s_and_saveexec_b32 s76, s6
	s_cbranch_execz .LBB2_89
; %bb.86:                               ;   in Loop: Header=BB2_4 Depth=1
	v_lshl_add_u64 v[26:27], v[4:5], 2, s[60:61]
	v_mov_b32_e32 v1, v31
	s_mov_b32 s77, 0
	s_mov_b64 s[60:61], s[44:45]
	s_delay_alu instid0(VALU_DEP_2)
	v_lshl_add_u64 v[26:27], v[6:7], 2, v[26:27]
.LBB2_87:                               ;   Parent Loop BB2_4 Depth=1
                                        ; =>  This Inner Loop Header: Depth=2
	s_sub_co_i32 s78, s63, s60
	s_sub_co_i32 s79, s72, s61
	s_mul_i32 s78, s78, s18
	s_mul_i32 s79, s79, s69
	v_lshl_add_u32 v50, s78, 2, v29
	v_lshl_add_u32 v51, s79, 2, v29
	v_add_nc_u32_e32 v1, -2, v1
	s_ashr_i32 s79, s60, 31
	s_mov_b32 s78, s60
	ds_load_b32 v54, v50
	ds_load_b32 v55, v51
	s_ashr_i32 s81, s61, 31
	s_mov_b32 s80, s61
	s_mul_u64 s[78:79], s[34:35], s[78:79]
	v_cmp_eq_u32_e32 vcc_lo, 0, v1
	s_mul_u64 s[80:81], s[42:43], s[80:81]
	v_lshl_add_u64 v[50:51], s[78:79], 2, v[26:27]
	v_lshl_add_u64 v[52:53], s[80:81], 2, v[26:27]
	s_add_co_i32 s61, s61, -2
	s_add_co_i32 s60, s60, -2
	s_or_b32 s77, vcc_lo, s77
	s_wait_dscnt 0x1
	global_store_b32 v[50:51], v54, off
	s_wait_dscnt 0x0
	global_store_b32 v[52:53], v55, off
	s_wait_xcnt 0x0
	s_and_not1_b32 exec_lo, exec_lo, s77
	s_cbranch_execnz .LBB2_87
; %bb.88:                               ;   in Loop: Header=BB2_4 Depth=1
	s_or_b32 exec_lo, exec_lo, s77
	v_mov_b32_e32 v1, v32
	s_or_not1_b32 s77, s7, exec_lo
.LBB2_89:                               ;   in Loop: Header=BB2_4 Depth=1
	s_or_b32 exec_lo, exec_lo, s76
	s_delay_alu instid0(SALU_CYCLE_1)
	s_and_b32 exec_lo, exec_lo, s77
	s_cbranch_execz .LBB2_92
; %bb.90:                               ;   in Loop: Header=BB2_4 Depth=1
	v_mad_nc_u64_u32 v[26:27], s16, v1, s[58:59]
	v_ashrrev_i32_e32 v50, 31, v1
	s_mov_b32 s60, 0
	s_delay_alu instid0(VALU_DEP_2) | instskip(NEXT) | instid1(VALU_DEP_1)
	v_mad_u32 v27, s17, v1, v27
	v_mad_u32 v27, s16, v50, v27
	v_dual_sub_nc_u32 v50, s63, v1 :: v_dual_add_nc_u32 v1, 1, v1
	s_delay_alu instid0(VALU_DEP_1) | instskip(NEXT) | instid1(VALU_DEP_3)
	v_mad_u32 v50, s46, v50, v37
	v_add_nc_u64_e32 v[26:27], v[22:23], v[26:27]
.LBB2_91:                               ;   Parent Loop BB2_4 Depth=1
                                        ; =>  This Inner Loop Header: Depth=2
	ds_load_b32 v51, v50
	v_dual_add_nc_u32 v1, -1, v1 :: v_dual_add_nc_u32 v50, s46, v50
	s_delay_alu instid0(VALU_DEP_1)
	v_cmp_le_i32_e32 vcc_lo, v1, v6
	s_or_b32 s60, vcc_lo, s60
	s_wait_dscnt 0x0
	global_store_b32 v[26:27], v51, off
	s_wait_xcnt 0x0
	v_add_nc_u64_e32 v[26:27], s[56:57], v[26:27]
	s_and_not1_b32 exec_lo, exec_lo, s60
	s_cbranch_execnz .LBB2_91
.LBB2_92:                               ;   in Loop: Header=BB2_4 Depth=1
	s_or_b32 exec_lo, exec_lo, s11
	s_mov_b32 s11, 0
.LBB2_93:                               ;   in Loop: Header=BB2_4 Depth=1
	s_delay_alu instid0(SALU_CYCLE_1)
	s_and_not1_b32 vcc_lo, exec_lo, s11
	s_cbranch_vccnz .LBB2_2
; %bb.94:                               ;   in Loop: Header=BB2_4 Depth=1
	s_and_b32 exec_lo, exec_lo, s5
	s_cbranch_execz .LBB2_2
; %bb.95:                               ;   in Loop: Header=BB2_4 Depth=1
	v_mov_b32_e32 v1, 0
	s_mov_b32 s60, -1
	s_and_saveexec_b32 s11, s73
	s_cbranch_execz .LBB2_99
; %bb.96:                               ;   in Loop: Header=BB2_4 Depth=1
	v_add_nc_u64_e32 v[26:27], s[58:59], v[24:25]
	v_mov_b32_e32 v1, v33
	s_mov_b32 s61, 1
	s_mov_b32 s60, 0
	;; [unrolled: 1-line block ×3, first 2 shown]
.LBB2_97:                               ;   Parent Loop BB2_4 Depth=1
                                        ; =>  This Inner Loop Header: Depth=2
	s_delay_alu instid0(SALU_CYCLE_1)
	s_mul_i32 s77, s76, s18
	s_mul_i32 s78, s61, s69
	v_lshl_add_u32 v50, s77, 2, v28
	v_lshl_add_u32 v51, s78, 2, v28
	v_add_nc_u32_e32 v1, -2, v1
	s_add_co_i32 s76, s76, 2
	s_add_co_i32 s61, s61, 2
	ds_load_b32 v50, v50
	ds_load_b32 v51, v51
	v_cmp_eq_u32_e32 vcc_lo, 0, v1
	s_or_b32 s60, vcc_lo, s60
	s_wait_dscnt 0x0
	global_store_b64 v[26:27], v[50:51], off
	s_wait_xcnt 0x0
	v_add_nc_u64_e32 v[26:27], 8, v[26:27]
	s_and_not1_b32 exec_lo, exec_lo, s60
	s_cbranch_execnz .LBB2_97
; %bb.98:                               ;   in Loop: Header=BB2_4 Depth=1
	s_or_b32 exec_lo, exec_lo, s60
	v_mov_b32_e32 v1, v33
	s_or_not1_b32 s60, s8, exec_lo
.LBB2_99:                               ;   in Loop: Header=BB2_4 Depth=1
	s_or_b32 exec_lo, exec_lo, s11
	s_delay_alu instid0(SALU_CYCLE_1)
	s_and_b32 exec_lo, exec_lo, s60
	s_cbranch_execz .LBB2_2
; %bb.100:                              ;   in Loop: Header=BB2_4 Depth=1
	v_mad_nc_u64_u32 v[26:27], s16, v1, s[58:59]
	v_mad_u32 v50, s46, v1, v11
	s_mov_b32 s11, 0
	s_delay_alu instid0(VALU_DEP_2) | instskip(SKIP_1) | instid1(VALU_DEP_2)
	v_mad_u32 v27, s17, v1, v27
	v_add_nc_u32_e32 v1, v49, v1
	v_add_nc_u64_e32 v[26:27], v[24:25], v[26:27]
.LBB2_101:                              ;   Parent Loop BB2_4 Depth=1
                                        ; =>  This Inner Loop Header: Depth=2
	ds_load_b32 v51, v50
	v_add_co_u32 v1, s58, v1, 1
	v_add_nc_u32_e32 v50, s46, v50
	s_or_b32 s11, s58, s11
	s_wait_dscnt 0x0
	global_store_b32 v[26:27], v51, off
	s_wait_xcnt 0x0
	v_add_nc_u64_e32 v[26:27], s[16:17], v[26:27]
	s_and_not1_b32 exec_lo, exec_lo, s11
	s_cbranch_execnz .LBB2_101
	s_branch .LBB2_2
.LBB2_102:
	s_endpgm
	.section	.rodata,"a",@progbits
	.p2align	6, 0x0
	.amdhsa_kernel _ZL29rocblas_trtri_diagonal_kernelILi16EfPKfPfEv13rocblas_fill_17rocblas_diagonal_iT1_lillT2_lilli
		.amdhsa_group_segment_fixed_size 4096
		.amdhsa_private_segment_fixed_size 0
		.amdhsa_kernarg_size 100
		.amdhsa_user_sgpr_count 2
		.amdhsa_user_sgpr_dispatch_ptr 0
		.amdhsa_user_sgpr_queue_ptr 0
		.amdhsa_user_sgpr_kernarg_segment_ptr 1
		.amdhsa_user_sgpr_dispatch_id 0
		.amdhsa_user_sgpr_kernarg_preload_length 0
		.amdhsa_user_sgpr_kernarg_preload_offset 0
		.amdhsa_user_sgpr_private_segment_size 0
		.amdhsa_wavefront_size32 1
		.amdhsa_uses_dynamic_stack 0
		.amdhsa_enable_private_segment 0
		.amdhsa_system_sgpr_workgroup_id_x 1
		.amdhsa_system_sgpr_workgroup_id_y 0
		.amdhsa_system_sgpr_workgroup_id_z 1
		.amdhsa_system_sgpr_workgroup_info 0
		.amdhsa_system_vgpr_workitem_id 0
		.amdhsa_next_free_vgpr 56
		.amdhsa_next_free_sgpr 86
		.amdhsa_named_barrier_count 0
		.amdhsa_reserve_vcc 1
		.amdhsa_float_round_mode_32 0
		.amdhsa_float_round_mode_16_64 0
		.amdhsa_float_denorm_mode_32 3
		.amdhsa_float_denorm_mode_16_64 3
		.amdhsa_fp16_overflow 0
		.amdhsa_memory_ordered 1
		.amdhsa_forward_progress 1
		.amdhsa_inst_pref_size 31
		.amdhsa_round_robin_scheduling 0
		.amdhsa_exception_fp_ieee_invalid_op 0
		.amdhsa_exception_fp_denorm_src 0
		.amdhsa_exception_fp_ieee_div_zero 0
		.amdhsa_exception_fp_ieee_overflow 0
		.amdhsa_exception_fp_ieee_underflow 0
		.amdhsa_exception_fp_ieee_inexact 0
		.amdhsa_exception_int_div_zero 0
	.end_amdhsa_kernel
	.section	.text._ZL29rocblas_trtri_diagonal_kernelILi16EfPKfPfEv13rocblas_fill_17rocblas_diagonal_iT1_lillT2_lilli,"axG",@progbits,_ZL29rocblas_trtri_diagonal_kernelILi16EfPKfPfEv13rocblas_fill_17rocblas_diagonal_iT1_lillT2_lilli,comdat
.Lfunc_end2:
	.size	_ZL29rocblas_trtri_diagonal_kernelILi16EfPKfPfEv13rocblas_fill_17rocblas_diagonal_iT1_lillT2_lilli, .Lfunc_end2-_ZL29rocblas_trtri_diagonal_kernelILi16EfPKfPfEv13rocblas_fill_17rocblas_diagonal_iT1_lillT2_lilli
                                        ; -- End function
	.set _ZL29rocblas_trtri_diagonal_kernelILi16EfPKfPfEv13rocblas_fill_17rocblas_diagonal_iT1_lillT2_lilli.num_vgpr, 56
	.set _ZL29rocblas_trtri_diagonal_kernelILi16EfPKfPfEv13rocblas_fill_17rocblas_diagonal_iT1_lillT2_lilli.num_agpr, 0
	.set _ZL29rocblas_trtri_diagonal_kernelILi16EfPKfPfEv13rocblas_fill_17rocblas_diagonal_iT1_lillT2_lilli.numbered_sgpr, 86
	.set _ZL29rocblas_trtri_diagonal_kernelILi16EfPKfPfEv13rocblas_fill_17rocblas_diagonal_iT1_lillT2_lilli.num_named_barrier, 0
	.set _ZL29rocblas_trtri_diagonal_kernelILi16EfPKfPfEv13rocblas_fill_17rocblas_diagonal_iT1_lillT2_lilli.private_seg_size, 0
	.set _ZL29rocblas_trtri_diagonal_kernelILi16EfPKfPfEv13rocblas_fill_17rocblas_diagonal_iT1_lillT2_lilli.uses_vcc, 1
	.set _ZL29rocblas_trtri_diagonal_kernelILi16EfPKfPfEv13rocblas_fill_17rocblas_diagonal_iT1_lillT2_lilli.uses_flat_scratch, 0
	.set _ZL29rocblas_trtri_diagonal_kernelILi16EfPKfPfEv13rocblas_fill_17rocblas_diagonal_iT1_lillT2_lilli.has_dyn_sized_stack, 0
	.set _ZL29rocblas_trtri_diagonal_kernelILi16EfPKfPfEv13rocblas_fill_17rocblas_diagonal_iT1_lillT2_lilli.has_recursion, 0
	.set _ZL29rocblas_trtri_diagonal_kernelILi16EfPKfPfEv13rocblas_fill_17rocblas_diagonal_iT1_lillT2_lilli.has_indirect_call, 0
	.section	.AMDGPU.csdata,"",@progbits
; Kernel info:
; codeLenInByte = 3936
; TotalNumSgprs: 88
; NumVgprs: 56
; ScratchSize: 0
; MemoryBound: 0
; FloatMode: 240
; IeeeMode: 1
; LDSByteSize: 4096 bytes/workgroup (compile time only)
; SGPRBlocks: 0
; VGPRBlocks: 3
; NumSGPRsForWavesPerEU: 88
; NumVGPRsForWavesPerEU: 56
; NamedBarCnt: 0
; Occupancy: 16
; WaveLimiterHint : 0
; COMPUTE_PGM_RSRC2:SCRATCH_EN: 0
; COMPUTE_PGM_RSRC2:USER_SGPR: 2
; COMPUTE_PGM_RSRC2:TRAP_HANDLER: 0
; COMPUTE_PGM_RSRC2:TGID_X_EN: 1
; COMPUTE_PGM_RSRC2:TGID_Y_EN: 0
; COMPUTE_PGM_RSRC2:TGID_Z_EN: 1
; COMPUTE_PGM_RSRC2:TIDIG_COMP_CNT: 0
	.section	.text._ZL30rocblas_trtri_remainder_kernelILi16EfPKfPfEv13rocblas_fill_17rocblas_diagonal_iT1_lillT2_lilli,"axG",@progbits,_ZL30rocblas_trtri_remainder_kernelILi16EfPKfPfEv13rocblas_fill_17rocblas_diagonal_iT1_lillT2_lilli,comdat
	.globl	_ZL30rocblas_trtri_remainder_kernelILi16EfPKfPfEv13rocblas_fill_17rocblas_diagonal_iT1_lillT2_lilli ; -- Begin function _ZL30rocblas_trtri_remainder_kernelILi16EfPKfPfEv13rocblas_fill_17rocblas_diagonal_iT1_lillT2_lilli
	.p2align	8
	.type	_ZL30rocblas_trtri_remainder_kernelILi16EfPKfPfEv13rocblas_fill_17rocblas_diagonal_iT1_lillT2_lilli,@function
_ZL30rocblas_trtri_remainder_kernelILi16EfPKfPfEv13rocblas_fill_17rocblas_diagonal_iT1_lillT2_lilli: ; @_ZL30rocblas_trtri_remainder_kernelILi16EfPKfPfEv13rocblas_fill_17rocblas_diagonal_iT1_lillT2_lilli
; %bb.0:
	s_load_b32 s23, s[0:1], 0x60
	s_bfe_u32 s2, ttmp6, 0x40014
	s_lshr_b32 s3, ttmp7, 16
	s_add_co_i32 s2, s2, 1
	s_bfe_u32 s5, ttmp6, 0x40008
	s_mul_i32 s4, s3, s2
	s_getreg_b32 s2, hwreg(HW_REG_IB_STS2, 6, 4)
	s_add_co_i32 s5, s5, s4
	s_cmp_eq_u32 s2, 0
	s_mov_b32 s27, 0
	s_cselect_b32 s24, s3, s5
	s_wait_kmcnt 0x0
	s_cmp_ge_u32 s24, s23
	s_cbranch_scc1 .LBB3_58
; %bb.1:
	s_clause 0x5
	s_load_b32 s28, s[0:1], 0x20
	s_load_b96 s[20:22], s[0:1], 0x0
	s_load_b32 s30, s[0:1], 0x48
	s_load_b128 s[16:19], s[0:1], 0x10
	s_load_b256 s[4:11], s[0:1], 0x28
	s_load_b128 s[12:15], s[0:1], 0x50
	v_mov_b32_e32 v3, 0
	v_cmp_gt_u32_e32 vcc_lo, 3, v0
	v_dual_lshlrev_b32 v2, 2, v0 :: v_dual_add_nc_u32 v1, 1, v0
	s_delay_alu instid0(VALU_DEP_1)
	v_and_b32_e32 v18, 0x7fe, v1
	s_wait_kmcnt 0x0
	s_ashr_i32 s29, s28, 31
	v_mul_lo_u32 v4, v0, s22
	s_cmp_lg_u64 s[28:29], 1
	v_sub_nc_u32_e32 v6, s22, v0
	s_cselect_b32 s25, -1, 0
	s_ashr_i32 s31, s30, 31
	v_cmp_gt_u32_e64 s0, s22, v0
	s_cmp_lg_u64 s[30:31], 1
	v_cmp_lt_u32_e64 s1, 1, v6
	s_cselect_b32 s48, -1, 0
	s_bfe_u32 s3, ttmp6, 0x4000c
	s_and_b32 s26, ttmp6, 15
	s_add_co_i32 s3, s3, 1
	s_lshl_b64 s[36:37], s[10:11], 2
	s_mul_i32 s3, ttmp9, s3
	s_lshl_b64 s[18:19], s[18:19], 2
	s_add_co_i32 s26, s26, s3
	s_cmp_eq_u32 s2, 0
	s_add_nc_u64 s[10:11], s[8:9], s[36:37]
	s_cselect_b32 s26, ttmp9, s26
	s_add_nc_u64 s[2:3], s[16:17], s[18:19]
	s_mul_u64 s[6:7], s[6:7], s[26:27]
	s_mul_u64 s[14:15], s[14:15], s[26:27]
	s_lshl_b64 s[38:39], s[6:7], 2
	s_lshl_b64 s[40:41], s[14:15], 2
	s_cmp_gt_i32 s22, 0
	s_add_nc_u64 s[2:3], s[2:3], s[38:39]
	s_cselect_b32 s43, -1, 0
	s_cmp_lg_u32 s20, 0x7a
	s_add_nc_u64 s[10:11], s[10:11], s[40:41]
	s_cselect_b32 s44, -1, 0
	s_add_co_i32 s45, s22, -1
	s_cmp_lg_u32 s21, 0x84
	v_dual_sub_nc_u32 v7, s45, v0 :: v_dual_bitop2_b32 v14, -2, v6 bitop3:0x40
	s_cselect_b32 s47, -1, 0
	s_add_co_i32 s7, s22, -2
	s_cmp_lg_u32 s22, 1
	s_add_nc_u64 s[20:21], s[40:41], s[36:37]
	s_cselect_b32 s14, -1, 0
	s_add_nc_u64 s[8:9], s[8:9], s[20:21]
	s_or_b32 s15, s25, s14
	s_or_b32 s14, s14, s48
	s_nor_b32 s48, vcc_lo, s15
	s_nor_b32 s49, vcc_lo, s14
	s_add_nc_u64 s[14:15], s[38:39], s[18:19]
	v_add_lshl_u32 v15, v4, v0, 2
	s_add_nc_u64 s[14:15], s[16:17], s[14:15]
	v_add_nc_u64_e32 v[4:5], s[2:3], v[2:3]
	v_dual_sub_nc_u32 v16, s45, v14 :: v_dual_lshlrev_b32 v17, 2, v7
	v_cmp_ne_u32_e64 s2, v6, v14
	v_add_nc_u64_e32 v[6:7], s[10:11], v[2:3]
	s_lshl_b32 s50, s22, 2
	v_add_nc_u64_e32 v[8:9], s[14:15], v[2:3]
	v_add_nc_u64_e32 v[10:11], s[8:9], v[2:3]
	v_cmp_ne_u32_e64 s3, v1, v18
	v_dual_add_nc_u32 v20, s50, v2 :: v_dual_bitop2_b32 v19, -4, v2 bitop3:0x14
	s_lshl_b64 s[14:15], s[28:29], 2
	s_lshl_b64 s[8:9], s[30:31], 2
	s_mov_b32 s34, s28
	s_mov_b32 s33, s22
	;; [unrolled: 1-line block ×8, first 2 shown]
	s_lshl_b64 s[16:17], s[4:5], 2
	s_sub_nc_u64 s[18:19], 0, s[14:15]
	s_add_co_i32 s51, s50, 4
	s_lshl_b64 s[20:21], s[12:13], 2
	s_sub_nc_u64 s[36:37], 0, s[8:9]
	s_branch .LBB3_4
.LBB3_2:                                ;   in Loop: Header=BB3_4 Depth=1
	s_or_b32 exec_lo, exec_lo, s52
.LBB3_3:                                ;   in Loop: Header=BB3_4 Depth=1
	s_add_co_i32 s24, s24, 0x10000
	s_delay_alu instid0(SALU_CYCLE_1)
	s_cmp_lt_u32 s24, s23
	s_cbranch_scc0 .LBB3_58
.LBB3_4:                                ; =>This Loop Header: Depth=1
                                        ;     Child Loop BB3_9 Depth 2
                                        ;     Child Loop BB3_13 Depth 2
	;; [unrolled: 1-line block ×5, first 2 shown]
                                        ;       Child Loop BB3_36 Depth 3
                                        ;     Child Loop BB3_44 Depth 2
                                        ;     Child Loop BB3_48 Depth 2
	;; [unrolled: 1-line block ×4, first 2 shown]
	s_and_not1_b32 vcc_lo, exec_lo, s43
	s_cbranch_vccnz .LBB3_3
; %bb.5:                                ;   in Loop: Header=BB3_4 Depth=1
	s_mov_b32 s25, s27
	s_and_saveexec_b32 s52, s0
	s_cbranch_execz .LBB3_23
; %bb.6:                                ;   in Loop: Header=BB3_4 Depth=1
	s_mul_u64 s[38:39], s[16:17], s[24:25]
	s_and_not1_b32 vcc_lo, exec_lo, s44
	s_mov_b32 s26, -1
	s_cbranch_vccnz .LBB3_15
; %bb.7:                                ;   in Loop: Header=BB3_4 Depth=1
	v_mov_b32_e32 v3, s45
	s_mov_b32 s40, -1
	s_and_saveexec_b32 s53, s1
	s_cbranch_execz .LBB3_11
; %bb.8:                                ;   in Loop: Header=BB3_4 Depth=1
	s_mul_u64 s[40:41], s[4:5], s[24:25]
	v_mov_b32_e32 v3, v14
	v_lshl_add_u64 v[12:13], s[40:41], 2, v[4:5]
	s_mov_b32 s54, 0
	s_mov_b64 s[40:41], s[6:7]
.LBB3_9:                                ;   Parent Loop BB3_4 Depth=1
                                        ; =>  This Inner Loop Header: Depth=2
	s_delay_alu instid0(SALU_CYCLE_1)
	s_mov_b32 s26, s40
	s_mov_b32 s56, s41
	;; [unrolled: 1-line block ×3, first 2 shown]
	s_mul_u64 s[58:59], s[28:29], s[26:27]
	s_mul_u64 s[56:57], s[34:35], s[56:57]
	v_lshl_add_u64 v[22:23], s[58:59], 2, v[12:13]
	v_lshl_add_u64 v[24:25], s[56:57], 2, v[12:13]
	v_add_nc_u32_e32 v3, -2, v3
	s_sub_co_i32 s55, s45, s40
	s_clause 0x1
	global_load_b32 v21, v[22:23], off
	global_load_b32 v22, v[24:25], off
	s_sub_co_i32 s26, s46, s41
	s_mul_i32 s55, s55, s33
	v_cmp_eq_u32_e32 vcc_lo, 0, v3
	s_mul_i32 s26, s26, s42
	v_lshl_add_u32 v23, s55, 2, v17
	s_wait_xcnt 0x0
	v_lshl_add_u32 v24, s26, 2, v17
	s_add_co_i32 s41, s41, -2
	s_add_co_i32 s40, s40, -2
	s_or_b32 s54, vcc_lo, s54
	s_wait_loadcnt 0x1
	ds_store_b32 v23, v21
	s_wait_loadcnt 0x0
	ds_store_b32 v24, v22
	s_and_not1_b32 exec_lo, exec_lo, s54
	s_cbranch_execnz .LBB3_9
; %bb.10:                               ;   in Loop: Header=BB3_4 Depth=1
	s_or_b32 exec_lo, exec_lo, s54
	v_mov_b32_e32 v3, v16
	s_or_not1_b32 s40, s2, exec_lo
.LBB3_11:                               ;   in Loop: Header=BB3_4 Depth=1
	s_or_b32 exec_lo, exec_lo, s53
	s_and_saveexec_b32 s26, s40
	s_cbranch_execz .LBB3_14
; %bb.12:                               ;   in Loop: Header=BB3_4 Depth=1
	v_mad_nc_u64_u32 v[12:13], s14, v3, s[38:39]
	v_lshlrev_b32_e32 v21, 2, v3
	s_mov_b32 s40, 0
	s_delay_alu instid0(VALU_DEP_2) | instskip(NEXT) | instid1(VALU_DEP_2)
	v_mad_u32 v13, s15, v3, v13
	v_dual_add_nc_u32 v3, 1, v3 :: v_dual_sub_nc_u32 v21, s50, v21
	s_delay_alu instid0(VALU_DEP_1) | instskip(NEXT) | instid1(VALU_DEP_3)
	v_mad_u32 v21, s22, v21, v19
	v_add_nc_u64_e32 v[12:13], v[8:9], v[12:13]
.LBB3_13:                               ;   Parent Loop BB3_4 Depth=1
                                        ; =>  This Inner Loop Header: Depth=2
	global_load_b32 v22, v[12:13], off
	v_add_nc_u32_e32 v3, -1, v3
	s_wait_xcnt 0x0
	v_add_nc_u64_e32 v[12:13], s[18:19], v[12:13]
	s_wait_loadcnt 0x0
	ds_store_b32 v21, v22
	v_add_nc_u32_e32 v21, s50, v21
	v_cmp_le_u32_e32 vcc_lo, v3, v0
	s_or_b32 s40, vcc_lo, s40
	s_delay_alu instid0(SALU_CYCLE_1)
	s_and_not1_b32 exec_lo, exec_lo, s40
	s_cbranch_execnz .LBB3_13
.LBB3_14:                               ;   in Loop: Header=BB3_4 Depth=1
	s_or_b32 exec_lo, exec_lo, s26
	s_mov_b32 s26, 0
.LBB3_15:                               ;   in Loop: Header=BB3_4 Depth=1
	s_delay_alu instid0(SALU_CYCLE_1)
	s_and_not1_b32 vcc_lo, exec_lo, s26
	s_cbranch_vccnz .LBB3_23
; %bb.16:                               ;   in Loop: Header=BB3_4 Depth=1
	v_mov_b32_e32 v21, 0
	s_mov_b32 s40, -1
	s_and_saveexec_b32 s26, s48
	s_cbranch_execz .LBB3_20
; %bb.17:                               ;   in Loop: Header=BB3_4 Depth=1
	v_add_nc_u64_e32 v[12:13], s[38:39], v[8:9]
	v_dual_mov_b32 v3, v2 :: v_dual_mov_b32 v21, v18
	s_mov_b32 s40, 0
.LBB3_18:                               ;   Parent Loop BB3_4 Depth=1
                                        ; =>  This Inner Loop Header: Depth=2
	global_load_b64 v[22:23], v[12:13], off
	v_add_nc_u32_e32 v21, -2, v21
	s_wait_xcnt 0x0
	v_add_nc_u64_e32 v[12:13], 8, v[12:13]
	s_wait_loadcnt 0x0
	ds_store_2addr_b32 v3, v22, v23 offset1:1
	v_add_nc_u32_e32 v3, 8, v3
	v_cmp_eq_u32_e32 vcc_lo, 0, v21
	s_or_b32 s40, vcc_lo, s40
	s_delay_alu instid0(SALU_CYCLE_1)
	s_and_not1_b32 exec_lo, exec_lo, s40
	s_cbranch_execnz .LBB3_18
; %bb.19:                               ;   in Loop: Header=BB3_4 Depth=1
	s_or_b32 exec_lo, exec_lo, s40
	v_mov_b32_e32 v21, v18
	s_or_not1_b32 s40, s3, exec_lo
.LBB3_20:                               ;   in Loop: Header=BB3_4 Depth=1
	s_or_b32 exec_lo, exec_lo, s26
	s_delay_alu instid0(SALU_CYCLE_1)
	s_and_b32 exec_lo, exec_lo, s40
	s_cbranch_execz .LBB3_23
; %bb.21:                               ;   in Loop: Header=BB3_4 Depth=1
	v_mad_nc_u64_u32 v[12:13], s14, v21, s[38:39]
	v_mad_u32 v3, s50, v21, v2
	s_mov_b32 s26, 0
	s_delay_alu instid0(VALU_DEP_2) | instskip(SKIP_1) | instid1(VALU_DEP_2)
	v_mad_i32_i24 v13, s15, v21, v13
	v_sub_nc_u32_e32 v21, v1, v21
	v_add_nc_u64_e32 v[12:13], v[8:9], v[12:13]
.LBB3_22:                               ;   Parent Loop BB3_4 Depth=1
                                        ; =>  This Inner Loop Header: Depth=2
	global_load_b32 v22, v[12:13], off
	v_add_nc_u32_e32 v21, -1, v21
	s_wait_xcnt 0x0
	v_add_nc_u64_e32 v[12:13], s[14:15], v[12:13]
	s_wait_loadcnt 0x0
	ds_store_b32 v3, v22
	v_add_nc_u32_e32 v3, s50, v3
	v_cmp_eq_u32_e32 vcc_lo, 0, v21
	s_or_b32 s26, vcc_lo, s26
	s_delay_alu instid0(SALU_CYCLE_1)
	s_and_not1_b32 exec_lo, exec_lo, s26
	s_cbranch_execnz .LBB3_22
.LBB3_23:                               ;   in Loop: Header=BB3_4 Depth=1
	s_or_b32 exec_lo, exec_lo, s52
	s_wait_dscnt 0x0
	s_barrier_signal -1
	s_barrier_wait -1
	s_and_saveexec_b32 s26, s0
	s_cbranch_execz .LBB3_29
; %bb.24:                               ;   in Loop: Header=BB3_4 Depth=1
	v_mov_b32_e32 v12, 1.0
	s_and_not1_b32 vcc_lo, exec_lo, s47
	s_cbranch_vccnz .LBB3_28
; %bb.25:                               ;   in Loop: Header=BB3_4 Depth=1
	ds_load_b32 v3, v15
	v_mov_b32_e32 v12, 1.0
	s_mov_b32 s38, exec_lo
	s_wait_dscnt 0x0
	v_cmpx_neq_f32_e32 0, v3
	s_cbranch_execz .LBB3_27
; %bb.26:                               ;   in Loop: Header=BB3_4 Depth=1
	v_div_scale_f32 v12, null, v3, v3, 1.0
	s_delay_alu instid0(VALU_DEP_1) | instskip(SKIP_1) | instid1(TRANS32_DEP_1)
	v_rcp_f32_e32 v13, v12
	v_nop
	v_fma_f32 v21, -v12, v13, 1.0
	s_delay_alu instid0(VALU_DEP_1) | instskip(SKIP_1) | instid1(VALU_DEP_1)
	v_fmac_f32_e32 v13, v21, v13
	v_div_scale_f32 v21, vcc_lo, 1.0, v3, 1.0
	v_mul_f32_e32 v22, v21, v13
	s_delay_alu instid0(VALU_DEP_1) | instskip(NEXT) | instid1(VALU_DEP_1)
	v_fma_f32 v23, -v12, v22, v21
	v_fmac_f32_e32 v22, v23, v13
	s_delay_alu instid0(VALU_DEP_1) | instskip(NEXT) | instid1(VALU_DEP_1)
	v_fma_f32 v12, -v12, v22, v21
	v_div_fmas_f32 v12, v12, v13, v22
	s_delay_alu instid0(VALU_DEP_1)
	v_div_fixup_f32 v12, v12, v3, 1.0
.LBB3_27:                               ;   in Loop: Header=BB3_4 Depth=1
	s_or_b32 exec_lo, exec_lo, s38
.LBB3_28:                               ;   in Loop: Header=BB3_4 Depth=1
	ds_store_b32 v15, v12
.LBB3_29:                               ;   in Loop: Header=BB3_4 Depth=1
	s_or_b32 exec_lo, exec_lo, s26
	v_mov_b32_e32 v3, v20
	s_mov_b32 s26, 0
	s_mov_b32 s38, 4
	s_wait_dscnt 0x0
	s_barrier_signal -1
	s_barrier_wait -1
	s_branch .LBB3_31
.LBB3_30:                               ;   in Loop: Header=BB3_31 Depth=2
	v_add_nc_u32_e32 v3, s50, v3
	s_add_co_i32 s38, s38, s51
	s_cmp_eq_u32 s26, s22
	s_barrier_signal -1
	s_barrier_wait -1
	s_cbranch_scc1 .LBB3_40
.LBB3_31:                               ;   Parent Loop BB3_4 Depth=1
                                        ; =>  This Loop Header: Depth=2
                                        ;       Child Loop BB3_36 Depth 3
	v_mov_b32_e32 v12, 0
	s_mul_i32 s39, s26, s22
	s_mov_b32 s40, exec_lo
	v_cmpx_lt_u32_e64 s26, v0
	s_cbranch_execz .LBB3_33
; %bb.32:                               ;   in Loop: Header=BB3_31 Depth=2
	s_lshl_b32 s41, s26, 2
	s_lshl_b32 s52, s39, 2
	s_delay_alu instid0(SALU_CYCLE_1) | instskip(NEXT) | instid1(SALU_CYCLE_1)
	s_add_co_i32 s41, s41, s52
	v_dual_mov_b32 v13, s41 :: v_dual_add_nc_u32 v12, s52, v2
	ds_load_b32 v12, v12
	ds_load_b32 v13, v13
	s_wait_dscnt 0x0
	v_fma_f32 v12, v12, v13, 0
.LBB3_33:                               ;   in Loop: Header=BB3_31 Depth=2
	s_or_b32 exec_lo, exec_lo, s40
	s_add_co_i32 s26, s26, 1
	s_delay_alu instid0(SALU_CYCLE_1)
	s_cmp_ge_i32 s26, s22
	s_barrier_signal -1
	s_barrier_wait -1
	s_cbranch_scc1 .LBB3_30
; %bb.34:                               ;   in Loop: Header=BB3_31 Depth=2
	v_lshl_add_u32 v13, s39, 2, v2
	v_mov_b32_e32 v21, v3
	s_mov_b32 s39, s38
	s_mov_b32 s40, s26
	s_branch .LBB3_36
.LBB3_35:                               ;   in Loop: Header=BB3_36 Depth=3
	s_or_b32 exec_lo, exec_lo, s41
	v_add_nc_u32_e32 v21, s50, v21
	s_add_co_i32 s40, s40, 1
	s_add_co_i32 s39, s39, 4
	s_cmp_eq_u32 s22, s40
	s_barrier_signal -1
	s_barrier_wait -1
	s_cbranch_scc1 .LBB3_30
.LBB3_36:                               ;   Parent Loop BB3_4 Depth=1
                                        ;     Parent Loop BB3_31 Depth=2
                                        ; =>    This Inner Loop Header: Depth=3
	s_mov_b32 s41, exec_lo
	v_cmpx_eq_u32_e64 s40, v0
	s_cbranch_execz .LBB3_38
; %bb.37:                               ;   in Loop: Header=BB3_36 Depth=3
	ds_load_b32 v22, v15
	s_wait_dscnt 0x0
	v_mul_f32_e64 v22, -v12, v22
	ds_store_b32 v13, v22
.LBB3_38:                               ;   in Loop: Header=BB3_36 Depth=3
	s_or_b32 exec_lo, exec_lo, s41
	s_delay_alu instid0(SALU_CYCLE_1)
	s_mov_b32 s41, exec_lo
	s_wait_dscnt 0x0
	s_barrier_signal -1
	s_barrier_wait -1
	v_cmpx_lt_u32_e64 s40, v0
	s_cbranch_execz .LBB3_35
; %bb.39:                               ;   in Loop: Header=BB3_36 Depth=3
	v_mov_b32_e32 v22, s39
	ds_load_b32 v23, v21
	ds_load_b32 v22, v22
	s_wait_dscnt 0x0
	v_fmac_f32_e32 v12, v23, v22
	s_branch .LBB3_35
.LBB3_40:                               ;   in Loop: Header=BB3_4 Depth=1
	s_and_saveexec_b32 s52, s0
	s_cbranch_execz .LBB3_2
; %bb.41:                               ;   in Loop: Header=BB3_4 Depth=1
	s_mul_u64 s[38:39], s[20:21], s[24:25]
	s_and_not1_b32 vcc_lo, exec_lo, s44
	s_mov_b32 s26, -1
	s_cbranch_vccnz .LBB3_50
; %bb.42:                               ;   in Loop: Header=BB3_4 Depth=1
	v_mov_b32_e32 v3, s45
	s_and_saveexec_b32 s53, s1
	s_cbranch_execz .LBB3_46
; %bb.43:                               ;   in Loop: Header=BB3_4 Depth=1
	s_mul_u64 s[40:41], s[12:13], s[24:25]
	v_mov_b32_e32 v3, v14
	v_lshl_add_u64 v[12:13], s[40:41], 2, v[6:7]
	s_mov_b32 s25, 0
	s_mov_b64 s[40:41], s[6:7]
.LBB3_44:                               ;   Parent Loop BB3_4 Depth=1
                                        ; =>  This Inner Loop Header: Depth=2
	s_delay_alu instid0(SALU_CYCLE_1)
	s_sub_co_i32 s26, s45, s40
	s_sub_co_i32 s54, s46, s41
	s_mul_i32 s26, s26, s33
	s_mul_i32 s54, s54, s42
	v_lshl_add_u32 v21, s26, 2, v17
	v_lshl_add_u32 v22, s54, 2, v17
	v_add_nc_u32_e32 v3, -2, v3
	s_mov_b32 s26, s40
	s_mov_b32 s54, s41
	ds_load_b32 v21, v21
	ds_load_b32 v26, v22
	s_mov_b32 s55, s27
	s_mul_u64 s[56:57], s[30:31], s[26:27]
	v_cmp_eq_u32_e32 vcc_lo, 0, v3
	s_mul_u64 s[54:55], s[10:11], s[54:55]
	v_lshl_add_u64 v[22:23], s[56:57], 2, v[12:13]
	v_lshl_add_u64 v[24:25], s[54:55], 2, v[12:13]
	s_add_co_i32 s41, s41, -2
	s_add_co_i32 s40, s40, -2
	s_or_b32 s25, vcc_lo, s25
	s_wait_dscnt 0x1
	global_store_b32 v[22:23], v21, off
	s_wait_dscnt 0x0
	global_store_b32 v[24:25], v26, off
	s_wait_xcnt 0x0
	s_and_not1_b32 exec_lo, exec_lo, s25
	s_cbranch_execnz .LBB3_44
; %bb.45:                               ;   in Loop: Header=BB3_4 Depth=1
	s_or_b32 exec_lo, exec_lo, s25
	v_mov_b32_e32 v3, v16
	s_or_not1_b32 s26, s2, exec_lo
.LBB3_46:                               ;   in Loop: Header=BB3_4 Depth=1
	s_or_b32 exec_lo, exec_lo, s53
	s_and_saveexec_b32 s25, s26
	s_cbranch_execz .LBB3_49
; %bb.47:                               ;   in Loop: Header=BB3_4 Depth=1
	v_mad_nc_u64_u32 v[12:13], s8, v3, s[38:39]
	v_lshlrev_b32_e32 v21, 2, v3
	s_mov_b32 s26, 0
	s_delay_alu instid0(VALU_DEP_2) | instskip(NEXT) | instid1(VALU_DEP_2)
	v_mad_u32 v13, s9, v3, v13
	v_dual_add_nc_u32 v3, 1, v3 :: v_dual_sub_nc_u32 v21, s50, v21
	s_delay_alu instid0(VALU_DEP_1) | instskip(NEXT) | instid1(VALU_DEP_3)
	v_mad_u32 v21, s22, v21, v19
	v_add_nc_u64_e32 v[12:13], v[10:11], v[12:13]
.LBB3_48:                               ;   Parent Loop BB3_4 Depth=1
                                        ; =>  This Inner Loop Header: Depth=2
	ds_load_b32 v22, v21
	v_dual_add_nc_u32 v3, -1, v3 :: v_dual_add_nc_u32 v21, s50, v21
	s_delay_alu instid0(VALU_DEP_1)
	v_cmp_le_u32_e32 vcc_lo, v3, v0
	s_or_b32 s26, vcc_lo, s26
	s_wait_dscnt 0x0
	global_store_b32 v[12:13], v22, off
	s_wait_xcnt 0x0
	v_add_nc_u64_e32 v[12:13], s[36:37], v[12:13]
	s_and_not1_b32 exec_lo, exec_lo, s26
	s_cbranch_execnz .LBB3_48
.LBB3_49:                               ;   in Loop: Header=BB3_4 Depth=1
	s_or_b32 exec_lo, exec_lo, s25
	s_mov_b32 s26, 0
.LBB3_50:                               ;   in Loop: Header=BB3_4 Depth=1
	s_delay_alu instid0(SALU_CYCLE_1)
	s_and_not1_b32 vcc_lo, exec_lo, s26
	s_cbranch_vccnz .LBB3_2
; %bb.51:                               ;   in Loop: Header=BB3_4 Depth=1
	v_mov_b32_e32 v21, 0
	s_mov_b32 s26, -1
	s_and_saveexec_b32 s25, s49
	s_cbranch_execz .LBB3_55
; %bb.52:                               ;   in Loop: Header=BB3_4 Depth=1
	v_add_nc_u64_e32 v[12:13], s[38:39], v[10:11]
	v_dual_mov_b32 v3, v2 :: v_dual_mov_b32 v21, v18
	s_mov_b32 s26, 0
.LBB3_53:                               ;   Parent Loop BB3_4 Depth=1
                                        ; =>  This Inner Loop Header: Depth=2
	ds_load_2addr_b32 v[22:23], v3 offset1:1
	v_dual_add_nc_u32 v21, -2, v21 :: v_dual_add_nc_u32 v3, 8, v3
	s_delay_alu instid0(VALU_DEP_1)
	v_cmp_eq_u32_e32 vcc_lo, 0, v21
	s_or_b32 s26, vcc_lo, s26
	s_wait_dscnt 0x0
	global_store_b64 v[12:13], v[22:23], off
	s_wait_xcnt 0x0
	v_add_nc_u64_e32 v[12:13], 8, v[12:13]
	s_and_not1_b32 exec_lo, exec_lo, s26
	s_cbranch_execnz .LBB3_53
; %bb.54:                               ;   in Loop: Header=BB3_4 Depth=1
	s_or_b32 exec_lo, exec_lo, s26
	v_mov_b32_e32 v21, v18
	s_or_not1_b32 s26, s3, exec_lo
.LBB3_55:                               ;   in Loop: Header=BB3_4 Depth=1
	s_or_b32 exec_lo, exec_lo, s25
	s_delay_alu instid0(SALU_CYCLE_1)
	s_and_b32 exec_lo, exec_lo, s26
	s_cbranch_execz .LBB3_2
; %bb.56:                               ;   in Loop: Header=BB3_4 Depth=1
	v_mad_nc_u64_u32 v[12:13], s8, v21, s[38:39]
	v_mad_u32 v3, s50, v21, v2
	s_mov_b32 s25, 0
	s_delay_alu instid0(VALU_DEP_2) | instskip(SKIP_1) | instid1(VALU_DEP_2)
	v_mad_i32_i24 v13, s9, v21, v13
	v_sub_nc_u32_e32 v21, v1, v21
	v_add_nc_u64_e32 v[12:13], v[10:11], v[12:13]
.LBB3_57:                               ;   Parent Loop BB3_4 Depth=1
                                        ; =>  This Inner Loop Header: Depth=2
	ds_load_b32 v22, v3
	v_dual_add_nc_u32 v21, -1, v21 :: v_dual_add_nc_u32 v3, s50, v3
	s_delay_alu instid0(VALU_DEP_1)
	v_cmp_eq_u32_e32 vcc_lo, 0, v21
	s_or_b32 s25, vcc_lo, s25
	s_wait_dscnt 0x0
	global_store_b32 v[12:13], v22, off
	s_wait_xcnt 0x0
	v_add_nc_u64_e32 v[12:13], s[8:9], v[12:13]
	s_and_not1_b32 exec_lo, exec_lo, s25
	s_cbranch_execnz .LBB3_57
	s_branch .LBB3_2
.LBB3_58:
	s_endpgm
	.section	.rodata,"a",@progbits
	.p2align	6, 0x0
	.amdhsa_kernel _ZL30rocblas_trtri_remainder_kernelILi16EfPKfPfEv13rocblas_fill_17rocblas_diagonal_iT1_lillT2_lilli
		.amdhsa_group_segment_fixed_size 4096
		.amdhsa_private_segment_fixed_size 0
		.amdhsa_kernarg_size 100
		.amdhsa_user_sgpr_count 2
		.amdhsa_user_sgpr_dispatch_ptr 0
		.amdhsa_user_sgpr_queue_ptr 0
		.amdhsa_user_sgpr_kernarg_segment_ptr 1
		.amdhsa_user_sgpr_dispatch_id 0
		.amdhsa_user_sgpr_kernarg_preload_length 0
		.amdhsa_user_sgpr_kernarg_preload_offset 0
		.amdhsa_user_sgpr_private_segment_size 0
		.amdhsa_wavefront_size32 1
		.amdhsa_uses_dynamic_stack 0
		.amdhsa_enable_private_segment 0
		.amdhsa_system_sgpr_workgroup_id_x 1
		.amdhsa_system_sgpr_workgroup_id_y 0
		.amdhsa_system_sgpr_workgroup_id_z 1
		.amdhsa_system_sgpr_workgroup_info 0
		.amdhsa_system_vgpr_workitem_id 0
		.amdhsa_next_free_vgpr 27
		.amdhsa_next_free_sgpr 60
		.amdhsa_named_barrier_count 0
		.amdhsa_reserve_vcc 1
		.amdhsa_float_round_mode_32 0
		.amdhsa_float_round_mode_16_64 0
		.amdhsa_float_denorm_mode_32 3
		.amdhsa_float_denorm_mode_16_64 3
		.amdhsa_fp16_overflow 0
		.amdhsa_memory_ordered 1
		.amdhsa_forward_progress 1
		.amdhsa_inst_pref_size 18
		.amdhsa_round_robin_scheduling 0
		.amdhsa_exception_fp_ieee_invalid_op 0
		.amdhsa_exception_fp_denorm_src 0
		.amdhsa_exception_fp_ieee_div_zero 0
		.amdhsa_exception_fp_ieee_overflow 0
		.amdhsa_exception_fp_ieee_underflow 0
		.amdhsa_exception_fp_ieee_inexact 0
		.amdhsa_exception_int_div_zero 0
	.end_amdhsa_kernel
	.section	.text._ZL30rocblas_trtri_remainder_kernelILi16EfPKfPfEv13rocblas_fill_17rocblas_diagonal_iT1_lillT2_lilli,"axG",@progbits,_ZL30rocblas_trtri_remainder_kernelILi16EfPKfPfEv13rocblas_fill_17rocblas_diagonal_iT1_lillT2_lilli,comdat
.Lfunc_end3:
	.size	_ZL30rocblas_trtri_remainder_kernelILi16EfPKfPfEv13rocblas_fill_17rocblas_diagonal_iT1_lillT2_lilli, .Lfunc_end3-_ZL30rocblas_trtri_remainder_kernelILi16EfPKfPfEv13rocblas_fill_17rocblas_diagonal_iT1_lillT2_lilli
                                        ; -- End function
	.set _ZL30rocblas_trtri_remainder_kernelILi16EfPKfPfEv13rocblas_fill_17rocblas_diagonal_iT1_lillT2_lilli.num_vgpr, 27
	.set _ZL30rocblas_trtri_remainder_kernelILi16EfPKfPfEv13rocblas_fill_17rocblas_diagonal_iT1_lillT2_lilli.num_agpr, 0
	.set _ZL30rocblas_trtri_remainder_kernelILi16EfPKfPfEv13rocblas_fill_17rocblas_diagonal_iT1_lillT2_lilli.numbered_sgpr, 60
	.set _ZL30rocblas_trtri_remainder_kernelILi16EfPKfPfEv13rocblas_fill_17rocblas_diagonal_iT1_lillT2_lilli.num_named_barrier, 0
	.set _ZL30rocblas_trtri_remainder_kernelILi16EfPKfPfEv13rocblas_fill_17rocblas_diagonal_iT1_lillT2_lilli.private_seg_size, 0
	.set _ZL30rocblas_trtri_remainder_kernelILi16EfPKfPfEv13rocblas_fill_17rocblas_diagonal_iT1_lillT2_lilli.uses_vcc, 1
	.set _ZL30rocblas_trtri_remainder_kernelILi16EfPKfPfEv13rocblas_fill_17rocblas_diagonal_iT1_lillT2_lilli.uses_flat_scratch, 0
	.set _ZL30rocblas_trtri_remainder_kernelILi16EfPKfPfEv13rocblas_fill_17rocblas_diagonal_iT1_lillT2_lilli.has_dyn_sized_stack, 0
	.set _ZL30rocblas_trtri_remainder_kernelILi16EfPKfPfEv13rocblas_fill_17rocblas_diagonal_iT1_lillT2_lilli.has_recursion, 0
	.set _ZL30rocblas_trtri_remainder_kernelILi16EfPKfPfEv13rocblas_fill_17rocblas_diagonal_iT1_lillT2_lilli.has_indirect_call, 0
	.section	.AMDGPU.csdata,"",@progbits
; Kernel info:
; codeLenInByte = 2260
; TotalNumSgprs: 62
; NumVgprs: 27
; ScratchSize: 0
; MemoryBound: 0
; FloatMode: 240
; IeeeMode: 1
; LDSByteSize: 4096 bytes/workgroup (compile time only)
; SGPRBlocks: 0
; VGPRBlocks: 1
; NumSGPRsForWavesPerEU: 62
; NumVGPRsForWavesPerEU: 27
; NamedBarCnt: 0
; Occupancy: 16
; WaveLimiterHint : 0
; COMPUTE_PGM_RSRC2:SCRATCH_EN: 0
; COMPUTE_PGM_RSRC2:USER_SGPR: 2
; COMPUTE_PGM_RSRC2:TRAP_HANDLER: 0
; COMPUTE_PGM_RSRC2:TGID_X_EN: 1
; COMPUTE_PGM_RSRC2:TGID_Y_EN: 0
; COMPUTE_PGM_RSRC2:TGID_Z_EN: 1
; COMPUTE_PGM_RSRC2:TIDIG_COMP_CNT: 0
	.section	.text._ZL18rocblas_trtri_fillILi128EdPdEvP15_rocblas_handle13rocblas_fill_ililT1_llii,"axG",@progbits,_ZL18rocblas_trtri_fillILi128EdPdEvP15_rocblas_handle13rocblas_fill_ililT1_llii,comdat
	.globl	_ZL18rocblas_trtri_fillILi128EdPdEvP15_rocblas_handle13rocblas_fill_ililT1_llii ; -- Begin function _ZL18rocblas_trtri_fillILi128EdPdEvP15_rocblas_handle13rocblas_fill_ililT1_llii
	.p2align	8
	.type	_ZL18rocblas_trtri_fillILi128EdPdEvP15_rocblas_handle13rocblas_fill_ililT1_llii,@function
_ZL18rocblas_trtri_fillILi128EdPdEvP15_rocblas_handle13rocblas_fill_ililT1_llii: ; @_ZL18rocblas_trtri_fillILi128EdPdEvP15_rocblas_handle13rocblas_fill_ililT1_llii
; %bb.0:
	s_load_b64 s[2:3], s[0:1], 0x40
	s_bfe_u32 s4, ttmp6, 0x40014
	s_lshr_b32 s5, ttmp7, 16
	s_add_co_i32 s4, s4, 1
	s_bfe_u32 s6, ttmp6, 0x40008
	s_mul_i32 s4, s5, s4
	s_getreg_b32 s17, hwreg(HW_REG_IB_STS2, 6, 4)
	s_add_co_i32 s6, s6, s4
	s_cmp_eq_u32 s17, 0
	s_mov_b32 s19, 0
	s_cselect_b32 s16, s5, s6
	s_wait_kmcnt 0x0
	s_cmp_ge_u32 s16, s3
	s_cbranch_scc1 .LBB4_17
; %bb.1:
	s_clause 0x2
	s_load_b32 s20, s[0:1], 0x18
	s_load_b128 s[12:15], s[0:1], 0x8
	s_load_b256 s[4:11], s[0:1], 0x20
	s_bfe_u32 s18, ttmp6, 0x4000c
	s_and_b32 s22, ttmp6, 15
	s_add_co_i32 s18, s18, 1
	s_ashr_i32 s23, s2, 31
	s_mul_i32 s18, ttmp9, s18
	v_mov_b64_e32 v[6:7], 0
	s_add_co_i32 s22, s22, s18
	s_mov_b64 s[28:29], 0xffffffff
	s_add_nc_u64 s[34:35], s[0:1], 0x48
	s_wait_kmcnt 0x0
	s_ashr_i32 s21, s20, 31
	v_cvt_f32_u32_e32 v1, s14
	s_lshl_b64 s[24:25], s[8:9], 3
	s_cmp_eq_u32 s17, 0
	s_cvt_f32_u32 s17, s14
	s_cselect_b32 s18, ttmp9, s22
	v_rcp_iflag_f32_e32 v1, v1
	s_lshl_b64 s[8:9], s[18:19], 7
	s_cvt_f32_u32 s18, s15
	v_or_b32_e32 v0, s8, v0
	s_add_co_i32 s8, s13, -2
	s_mov_b32 s22, s2
	s_fmamk_f32 s17, s18, 0x4f800000, s17
	v_mul_f32_e32 v1, 0x4f7ffffe, v1
	v_cvt_f64_i32_e32 v[2:3], s8
	s_sub_co_i32 s8, 0, s14
	v_s_rcp_f32 s17, s17
	s_add_nc_u64 s[6:7], s[6:7], s[24:25]
	v_cvt_u32_f32_e32 v5, v1
	v_mov_b32_e32 v1, s9
	s_add_co_i32 s24, s13, -1
	s_sub_nc_u64 s[36:37], 0, s[14:15]
	s_ashr_i32 s25, s24, 31
	v_mul_lo_u32 v4, s8, v5
	s_mul_f32 s17, s17, 0x5f7ffffc
	s_mul_u64 s[8:9], s[14:15], s[22:23]
	s_ashr_i32 s23, s13, 31
	s_mov_b32 s22, s13
	s_mul_f32 s13, s17, 0x2f800000
	v_cmp_gt_u64_e64 s2, s[8:9], v[0:1]
	s_mul_u64 s[26:27], s[24:25], s[22:23]
	s_delay_alu instid0(SALU_CYCLE_1)
	s_trunc_f32 s13, s13
	s_lshl_b64 s[24:25], s[26:27], 2
	v_mul_hi_u32 v8, v5, v4
	v_mov_b32_e32 v4, 0
	s_fmamk_f32 s17, s13, 0xcf800000, s17
	s_cvt_u32_f32 s31, s13
	s_add_nc_u64 s[24:25], s[24:25], -7
	s_lshr_b64 s[26:27], s[26:27], 1
	s_cvt_u32_f32 s30, s17
	s_delay_alu instid0(VALU_DEP_2)
	v_add_nc_u32_e32 v14, v5, v8
	s_branch .LBB4_3
.LBB4_2:                                ;   in Loop: Header=BB4_3 Depth=1
	s_or_b32 exec_lo, exec_lo, s1
	s_add_co_i32 s16, s16, 0x10000
	s_delay_alu instid0(SALU_CYCLE_1)
	s_cmp_lt_u32 s16, s3
	s_cbranch_scc0 .LBB4_17
.LBB4_3:                                ; =>This Loop Header: Depth=1
                                        ;     Child Loop BB4_6 Depth 2
	s_and_saveexec_b32 s1, s2
	s_cbranch_execz .LBB4_2
; %bb.4:                                ;   in Loop: Header=BB4_3 Depth=1
	s_clause 0x1
	s_load_b32 s0, s[34:35], 0xc
	s_load_b32 s18, s[34:35], 0x0
	s_mov_b32 s17, s19
	v_mov_b64_e32 v[8:9], v[0:1]
	s_mul_u64 s[38:39], s[10:11], s[16:17]
	s_mov_b32 s41, s19
	s_lshl_b64 s[38:39], s[38:39], 3
	s_mov_b32 s13, 0
	s_add_nc_u64 s[38:39], s[6:7], s[38:39]
	s_wait_kmcnt 0x0
	s_and_b32 s40, s0, 0xffff
	s_delay_alu instid0(SALU_CYCLE_1)
	s_mul_u64 s[40:41], s[40:41], s[18:19]
	s_branch .LBB4_6
.LBB4_5:                                ;   in Loop: Header=BB4_6 Depth=2
	v_add_nc_u64_e32 v[8:9], s[40:41], v[8:9]
	s_delay_alu instid0(VALU_DEP_1)
	v_cmp_le_u64_e32 vcc_lo, s[8:9], v[8:9]
	s_or_b32 s13, vcc_lo, s13
	s_wait_xcnt 0x0
	s_and_not1_b32 exec_lo, exec_lo, s13
	s_cbranch_execz .LBB4_2
.LBB4_6:                                ;   Parent Loop BB4_3 Depth=1
                                        ; =>  This Inner Loop Header: Depth=2
	v_or_b32_e32 v5, s15, v9
                                        ; implicit-def: $vgpr10_vgpr11
	s_mov_b32 s0, exec_lo
	s_delay_alu instid0(VALU_DEP_1)
	v_cmpx_ne_u64_e32 0, v[4:5]
	s_xor_b32 s17, exec_lo, s0
	s_cbranch_execz .LBB4_8
; %bb.7:                                ;   in Loop: Header=BB4_6 Depth=2
	s_mul_u64 s[42:43], s[36:37], s[30:31]
	v_dual_mov_b32 v10, v8 :: v_dual_mov_b32 v11, v4
	s_mul_hi_u32 s45, s30, s43
	s_mul_i32 s44, s30, s43
	s_mul_hi_u32 s18, s30, s42
	s_mul_hi_u32 s0, s31, s42
	s_add_nc_u64 s[44:45], s[18:19], s[44:45]
	s_mul_i32 s18, s31, s42
	s_mul_hi_u32 s33, s31, s43
	s_add_co_u32 s18, s44, s18
	s_add_co_ci_u32 s18, s45, s0
	s_add_co_ci_u32 s45, s33, 0
	s_mul_i32 s44, s31, s43
	v_dual_mov_b32 v12, v9 :: v_dual_mov_b32 v13, v4
	s_add_nc_u64 s[42:43], s[18:19], s[44:45]
	v_mov_b32_e32 v19, v4
	s_add_co_u32 s42, s30, s42
	s_cselect_b32 s0, -1, 0
	s_delay_alu instid0(SALU_CYCLE_1) | instskip(SKIP_1) | instid1(SALU_CYCLE_1)
	s_cmp_lg_u32 s0, 0
	s_add_co_ci_u32 s43, s31, s43
	s_mul_u64 s[44:45], s[36:37], s[42:43]
	s_delay_alu instid0(SALU_CYCLE_1)
	s_mul_hi_u32 s47, s42, s45
	s_mul_i32 s46, s42, s45
	s_mul_hi_u32 s18, s42, s44
	s_mul_i32 s33, s43, s44
	s_add_nc_u64 s[46:47], s[18:19], s[46:47]
	s_mul_hi_u32 s0, s43, s44
	s_mul_hi_u32 s48, s43, s45
	s_add_co_u32 s18, s46, s33
	s_add_co_ci_u32 s18, s47, s0
	s_mul_i32 s44, s43, s45
	s_add_co_ci_u32 s45, s48, 0
	s_delay_alu instid0(SALU_CYCLE_1) | instskip(NEXT) | instid1(SALU_CYCLE_1)
	s_add_nc_u64 s[44:45], s[18:19], s[44:45]
	s_add_co_u32 s0, s42, s44
	s_cselect_b32 s18, -1, 0
	v_mul_hi_u32 v18, v8, s0
	s_cmp_lg_u32 s18, 0
	s_add_co_ci_u32 s18, s43, s45
	s_and_b64 s[42:43], s[0:1], s[28:29]
	v_mul_u64_e32 v[10:11], s[18:19], v[10:11]
	v_mul_u64_e32 v[16:17], s[42:43], v[12:13]
	;; [unrolled: 1-line block ×3, first 2 shown]
	s_delay_alu instid0(VALU_DEP_3) | instskip(NEXT) | instid1(VALU_DEP_1)
	v_add_nc_u64_e32 v[10:11], v[18:19], v[10:11]
	v_add_co_u32 v5, vcc_lo, v10, v16
	s_delay_alu instid0(VALU_DEP_2) | instskip(NEXT) | instid1(VALU_DEP_4)
	v_add_co_ci_u32_e32 v18, vcc_lo, v11, v17, vcc_lo
	v_add_co_ci_u32_e32 v13, vcc_lo, 0, v13, vcc_lo
	s_delay_alu instid0(VALU_DEP_1) | instskip(NEXT) | instid1(VALU_DEP_1)
	v_add_nc_u64_e32 v[10:11], v[18:19], v[12:13]
	v_mul_u64_e32 v[12:13], s[14:15], v[10:11]
	v_add_nc_u64_e32 v[16:17], 2, v[10:11]
	s_delay_alu instid0(VALU_DEP_2) | instskip(NEXT) | instid1(VALU_DEP_3)
	v_sub_nc_u32_e32 v5, v9, v13
	v_sub_co_u32 v12, vcc_lo, v8, v12
	s_delay_alu instid0(VALU_DEP_1) | instskip(NEXT) | instid1(VALU_DEP_3)
	v_sub_co_ci_u32_e64 v19, null, v9, v13, vcc_lo
	v_subrev_co_ci_u32_e64 v5, null, s15, v5, vcc_lo
	s_delay_alu instid0(VALU_DEP_3) | instskip(SKIP_1) | instid1(VALU_DEP_3)
	v_sub_co_u32 v15, s0, v12, s14
	v_cmp_le_u32_e32 vcc_lo, s14, v12
	v_subrev_co_ci_u32_e64 v5, null, 0, v5, s0
	s_delay_alu instid0(VALU_DEP_3) | instskip(SKIP_2) | instid1(VALU_DEP_4)
	v_cmp_le_u32_e64 s0, s14, v15
	v_add_nc_u64_e32 v[12:13], 1, v[10:11]
	v_cndmask_b32_e64 v20, 0, -1, vcc_lo
	v_cmp_eq_u32_e32 vcc_lo, s15, v5
	s_delay_alu instid0(VALU_DEP_4) | instskip(SKIP_1) | instid1(VALU_DEP_1)
	v_cndmask_b32_e64 v15, 0, -1, s0
	v_cmp_le_u32_e64 s0, s15, v5
	v_cndmask_b32_e64 v18, 0, -1, s0
	v_cmp_eq_u32_e64 s0, s15, v19
	s_delay_alu instid0(VALU_DEP_2) | instskip(SKIP_2) | instid1(VALU_DEP_3)
	v_cndmask_b32_e32 v5, v18, v15, vcc_lo
	v_cmp_le_u32_e32 vcc_lo, s15, v19
	v_cndmask_b32_e64 v15, 0, -1, vcc_lo
	v_cmp_ne_u32_e32 vcc_lo, 0, v5
	s_delay_alu instid0(VALU_DEP_2) | instskip(SKIP_1) | instid1(VALU_DEP_2)
	v_dual_cndmask_b32 v5, v15, v20, s0 :: v_dual_cndmask_b32 v13, v13, v17, vcc_lo
	v_cndmask_b32_e32 v12, v12, v16, vcc_lo
	v_cmp_ne_u32_e32 vcc_lo, 0, v5
	s_delay_alu instid0(VALU_DEP_2)
	v_dual_cndmask_b32 v11, v11, v13 :: v_dual_cndmask_b32 v10, v10, v12
.LBB4_8:                                ;   in Loop: Header=BB4_6 Depth=2
	s_and_not1_saveexec_b32 s0, s17
	s_cbranch_execz .LBB4_10
; %bb.9:                                ;   in Loop: Header=BB4_6 Depth=2
	v_mul_hi_u32 v5, v8, v14
	s_delay_alu instid0(VALU_DEP_1) | instskip(NEXT) | instid1(VALU_DEP_1)
	v_mul_lo_u32 v10, v5, s14
	v_dual_add_nc_u32 v11, 1, v5 :: v_dual_sub_nc_u32 v10, v8, v10
	s_delay_alu instid0(VALU_DEP_1) | instskip(SKIP_1) | instid1(VALU_DEP_2)
	v_subrev_nc_u32_e32 v12, s14, v10
	v_cmp_le_u32_e32 vcc_lo, s14, v10
	v_dual_cndmask_b32 v10, v10, v12 :: v_dual_cndmask_b32 v5, v5, v11
	s_delay_alu instid0(VALU_DEP_1) | instskip(NEXT) | instid1(VALU_DEP_2)
	v_cmp_le_u32_e32 vcc_lo, s14, v10
	v_add_nc_u32_e32 v11, 1, v5
	s_delay_alu instid0(VALU_DEP_1)
	v_dual_cndmask_b32 v10, v5, v11 :: v_dual_mov_b32 v11, v4
.LBB4_10:                               ;   in Loop: Header=BB4_6 Depth=2
	s_or_b32 exec_lo, exec_lo, s0
	s_delay_alu instid0(VALU_DEP_1) | instskip(SKIP_2) | instid1(VALU_DEP_1)
	v_mul_u64_e32 v[12:13], s[14:15], v[10:11]
	s_cmp_lt_i32 s12, 0x7a
	s_mov_b32 s0, -1
	v_sub_nc_u64_e32 v[12:13], v[8:9], v[12:13]
	s_cbranch_scc1 .LBB4_14
; %bb.11:                               ;   in Loop: Header=BB4_6 Depth=2
	s_cmp_eq_u32 s12, 0x7a
	s_cbranch_scc0 .LBB4_13
; %bb.12:                               ;   in Loop: Header=BB4_6 Depth=2
	s_delay_alu instid0(VALU_DEP_1) | instskip(NEXT) | instid1(VALU_DEP_1)
	v_lshlrev_b64_e32 v[16:17], 3, v[12:13]
	v_sub_nc_u64_e32 v[16:17], s[24:25], v[16:17]
	s_delay_alu instid0(VALU_DEP_1) | instskip(NEXT) | instid1(VALU_DEP_2)
	v_cvt_f64_u32_e32 v[18:19], v17
	v_cvt_f64_u32_e32 v[16:17], v16
	s_delay_alu instid0(VALU_DEP_2) | instskip(NEXT) | instid1(VALU_DEP_1)
	v_ldexp_f64 v[18:19], v[18:19], 32
	v_add_f64_e32 v[16:17], v[18:19], v[16:17]
	s_delay_alu instid0(VALU_DEP_1) | instskip(SKIP_1) | instid1(VALU_DEP_1)
	v_cmp_gt_f64_e32 vcc_lo, 0x10000000, v[16:17]
	v_cndmask_b32_e64 v5, 0, 0x100, vcc_lo
	v_ldexp_f64 v[16:17], v[16:17], v5
	v_cndmask_b32_e64 v5, 0, 0xffffff80, vcc_lo
	s_delay_alu instid0(VALU_DEP_2) | instskip(SKIP_1) | instid1(TRANS32_DEP_1)
	v_rsq_f64_e32 v[18:19], v[16:17]
	v_cmp_class_f64_e64 vcc_lo, v[16:17], 0x260
	v_mul_f64_e32 v[20:21], v[16:17], v[18:19]
	v_mul_f64_e32 v[18:19], 0.5, v[18:19]
	s_delay_alu instid0(VALU_DEP_1) | instskip(NEXT) | instid1(VALU_DEP_1)
	v_fma_f64 v[22:23], -v[18:19], v[20:21], 0.5
	v_fmac_f64_e32 v[20:21], v[20:21], v[22:23]
	v_fmac_f64_e32 v[18:19], v[18:19], v[22:23]
	s_delay_alu instid0(VALU_DEP_2) | instskip(NEXT) | instid1(VALU_DEP_1)
	v_fma_f64 v[22:23], -v[20:21], v[20:21], v[16:17]
	v_fmac_f64_e32 v[20:21], v[22:23], v[18:19]
	s_delay_alu instid0(VALU_DEP_1) | instskip(NEXT) | instid1(VALU_DEP_1)
	v_fma_f64 v[22:23], -v[20:21], v[20:21], v[16:17]
	v_fmac_f64_e32 v[20:21], v[22:23], v[18:19]
	s_delay_alu instid0(VALU_DEP_1) | instskip(SKIP_1) | instid1(VALU_DEP_2)
	v_ldexp_f64 v[18:19], v[20:21], v5
	v_mul_u64_e32 v[20:21], s[4:5], v[10:11]
	v_dual_cndmask_b32 v17, v19, v17 :: v_dual_cndmask_b32 v16, v18, v16
	s_delay_alu instid0(VALU_DEP_2) | instskip(NEXT) | instid1(VALU_DEP_2)
	v_lshl_add_u64 v[20:21], v[20:21], 3, s[38:39]
	v_fma_f64 v[16:17], v[16:17], 0.5, -0.5
	s_delay_alu instid0(VALU_DEP_1) | instskip(NEXT) | instid1(VALU_DEP_1)
	v_floor_f64_e32 v[16:17], v[16:17]
	v_add_f64_e64 v[16:17], v[2:3], -v[16:17]
	s_delay_alu instid0(VALU_DEP_1) | instskip(NEXT) | instid1(VALU_DEP_1)
	v_trunc_f64_e32 v[16:17], v[16:17]
	v_ldexp_f64 v[18:19], v[16:17], 0xffffffe0
	s_delay_alu instid0(VALU_DEP_1) | instskip(NEXT) | instid1(VALU_DEP_1)
	v_floor_f64_e32 v[18:19], v[18:19]
	v_fmac_f64_e32 v[16:17], 0xc1f00000, v[18:19]
	s_delay_alu instid0(VALU_DEP_1) | instskip(SKIP_1) | instid1(VALU_DEP_1)
	v_cvt_u32_f64_e32 v16, v[16:17]
	v_cvt_u32_f64_e32 v17, v[18:19]
	v_sub_nc_u64_e32 v[18:19], s[22:23], v[16:17]
	v_mul_u64_e32 v[24:25], s[20:21], v[16:17]
	s_delay_alu instid0(VALU_DEP_2) | instskip(NEXT) | instid1(VALU_DEP_1)
	v_add_nc_u64_e32 v[22:23], -1, v[18:19]
	v_mul_u64_e32 v[18:19], v[22:23], v[18:19]
	v_sub_nc_u64_e64 v[22:23], v[12:13], s[26:27]
	s_delay_alu instid0(VALU_DEP_4) | instskip(NEXT) | instid1(VALU_DEP_1)
	v_lshl_add_u64 v[20:21], v[24:25], 3, v[20:21]
	v_lshl_add_u64 v[20:21], v[22:23], 3, v[20:21]
	s_delay_alu instid0(VALU_DEP_1) | instskip(SKIP_1) | instid1(VALU_DEP_1)
	v_lshl_add_u64 v[16:17], v[16:17], 3, v[20:21]
	v_lshlrev_b64_e32 v[18:19], 2, v[18:19]
	v_and_b32_e32 v18, -8, v18
	s_delay_alu instid0(VALU_DEP_1)
	v_add_nc_u64_e32 v[16:17], v[16:17], v[18:19]
	global_store_b64 v[16:17], v[6:7], off offset:8
.LBB4_13:                               ;   in Loop: Header=BB4_6 Depth=2
	s_mov_b32 s0, 0
.LBB4_14:                               ;   in Loop: Header=BB4_6 Depth=2
	s_delay_alu instid0(SALU_CYCLE_1)
	s_and_not1_b32 vcc_lo, exec_lo, s0
	s_cbranch_vccnz .LBB4_5
; %bb.15:                               ;   in Loop: Header=BB4_6 Depth=2
	s_cmp_lg_u32 s12, 0x79
	s_cbranch_scc1 .LBB4_5
; %bb.16:                               ;   in Loop: Header=BB4_6 Depth=2
	s_wait_xcnt 0x0
	v_lshlrev_b64_e32 v[16:17], 3, v[12:13]
	v_mul_u64_e32 v[10:11], s[4:5], v[10:11]
	s_delay_alu instid0(VALU_DEP_2) | instskip(NEXT) | instid1(VALU_DEP_3)
	v_cvt_f64_u32_e32 v[18:19], v17
	v_or_b32_e32 v5, 1, v16
	s_delay_alu instid0(VALU_DEP_1) | instskip(NEXT) | instid1(VALU_DEP_4)
	v_cvt_f64_u32_e32 v[16:17], v5
	v_lshl_add_u64 v[10:11], v[10:11], 3, s[38:39]
	s_delay_alu instid0(VALU_DEP_4) | instskip(NEXT) | instid1(VALU_DEP_1)
	v_ldexp_f64 v[18:19], v[18:19], 32
	v_add_f64_e32 v[16:17], v[18:19], v[16:17]
	s_delay_alu instid0(VALU_DEP_1) | instskip(SKIP_1) | instid1(VALU_DEP_1)
	v_cmp_gt_f64_e32 vcc_lo, 0x10000000, v[16:17]
	v_cndmask_b32_e64 v5, 0, 0x100, vcc_lo
	v_ldexp_f64 v[16:17], v[16:17], v5
	v_cndmask_b32_e64 v5, 0, 0xffffff80, vcc_lo
	s_delay_alu instid0(VALU_DEP_2) | instskip(SKIP_1) | instid1(TRANS32_DEP_1)
	v_rsq_f64_e32 v[18:19], v[16:17]
	v_cmp_class_f64_e64 vcc_lo, v[16:17], 0x260
	v_mul_f64_e32 v[20:21], v[16:17], v[18:19]
	v_mul_f64_e32 v[18:19], 0.5, v[18:19]
	s_delay_alu instid0(VALU_DEP_1) | instskip(NEXT) | instid1(VALU_DEP_1)
	v_fma_f64 v[22:23], -v[18:19], v[20:21], 0.5
	v_fmac_f64_e32 v[20:21], v[20:21], v[22:23]
	v_fmac_f64_e32 v[18:19], v[18:19], v[22:23]
	s_delay_alu instid0(VALU_DEP_2) | instskip(NEXT) | instid1(VALU_DEP_1)
	v_fma_f64 v[22:23], -v[20:21], v[20:21], v[16:17]
	v_fmac_f64_e32 v[20:21], v[22:23], v[18:19]
	s_delay_alu instid0(VALU_DEP_1) | instskip(NEXT) | instid1(VALU_DEP_1)
	v_fma_f64 v[22:23], -v[20:21], v[20:21], v[16:17]
	v_fmac_f64_e32 v[20:21], v[22:23], v[18:19]
	s_delay_alu instid0(VALU_DEP_1) | instskip(NEXT) | instid1(VALU_DEP_1)
	v_ldexp_f64 v[18:19], v[20:21], v5
	v_dual_cndmask_b32 v17, v19, v17 :: v_dual_cndmask_b32 v16, v18, v16
	s_delay_alu instid0(VALU_DEP_1) | instskip(NEXT) | instid1(VALU_DEP_1)
	v_add_f64_e32 v[16:17], -1.0, v[16:17]
	v_mul_f64_e32 v[16:17], 0.5, v[16:17]
	s_delay_alu instid0(VALU_DEP_1) | instskip(NEXT) | instid1(VALU_DEP_1)
	v_trunc_f64_e32 v[16:17], v[16:17]
	v_ldexp_f64 v[18:19], v[16:17], 0xffffffe0
	s_delay_alu instid0(VALU_DEP_1) | instskip(NEXT) | instid1(VALU_DEP_1)
	v_floor_f64_e32 v[18:19], v[18:19]
	v_fmac_f64_e32 v[16:17], 0xc1f00000, v[18:19]
	s_delay_alu instid0(VALU_DEP_1) | instskip(SKIP_1) | instid1(VALU_DEP_2)
	v_cvt_u32_f64_e32 v16, v[16:17]
	v_cvt_u32_f64_e32 v17, v[18:19]
	v_mad_nc_u64_u32 v[18:19], s20, v16, s[20:21]
	s_delay_alu instid0(VALU_DEP_2) | instskip(SKIP_1) | instid1(VALU_DEP_3)
	v_mad_nc_u64_u32 v[20:21], v16, v16, v[16:17]
	v_mul_lo_u32 v5, v16, v17
	v_mad_u32 v15, s21, v16, v19
	s_delay_alu instid0(VALU_DEP_2) | instskip(NEXT) | instid1(VALU_DEP_2)
	v_add3_u32 v21, v5, v21, v5
	v_mad_u32 v19, s20, v17, v15
	s_delay_alu instid0(VALU_DEP_2) | instskip(NEXT) | instid1(VALU_DEP_1)
	v_lshrrev_b64 v[16:17], 1, v[20:21]
	v_sub_nc_u64_e32 v[12:13], v[12:13], v[16:17]
	s_delay_alu instid0(VALU_DEP_3) | instskip(NEXT) | instid1(VALU_DEP_1)
	v_lshl_add_u64 v[10:11], v[18:19], 3, v[10:11]
	v_lshl_add_u64 v[10:11], v[12:13], 3, v[10:11]
	global_store_b64 v[10:11], v[6:7], off
	s_branch .LBB4_5
.LBB4_17:
	s_endpgm
	.section	.rodata,"a",@progbits
	.p2align	6, 0x0
	.amdhsa_kernel _ZL18rocblas_trtri_fillILi128EdPdEvP15_rocblas_handle13rocblas_fill_ililT1_llii
		.amdhsa_group_segment_fixed_size 0
		.amdhsa_private_segment_fixed_size 0
		.amdhsa_kernarg_size 328
		.amdhsa_user_sgpr_count 2
		.amdhsa_user_sgpr_dispatch_ptr 0
		.amdhsa_user_sgpr_queue_ptr 0
		.amdhsa_user_sgpr_kernarg_segment_ptr 1
		.amdhsa_user_sgpr_dispatch_id 0
		.amdhsa_user_sgpr_kernarg_preload_length 0
		.amdhsa_user_sgpr_kernarg_preload_offset 0
		.amdhsa_user_sgpr_private_segment_size 0
		.amdhsa_wavefront_size32 1
		.amdhsa_uses_dynamic_stack 0
		.amdhsa_enable_private_segment 0
		.amdhsa_system_sgpr_workgroup_id_x 1
		.amdhsa_system_sgpr_workgroup_id_y 0
		.amdhsa_system_sgpr_workgroup_id_z 1
		.amdhsa_system_sgpr_workgroup_info 0
		.amdhsa_system_vgpr_workitem_id 0
		.amdhsa_next_free_vgpr 26
		.amdhsa_next_free_sgpr 49
		.amdhsa_named_barrier_count 0
		.amdhsa_reserve_vcc 1
		.amdhsa_float_round_mode_32 0
		.amdhsa_float_round_mode_16_64 0
		.amdhsa_float_denorm_mode_32 3
		.amdhsa_float_denorm_mode_16_64 3
		.amdhsa_fp16_overflow 0
		.amdhsa_memory_ordered 1
		.amdhsa_forward_progress 1
		.amdhsa_inst_pref_size 15
		.amdhsa_round_robin_scheduling 0
		.amdhsa_exception_fp_ieee_invalid_op 0
		.amdhsa_exception_fp_denorm_src 0
		.amdhsa_exception_fp_ieee_div_zero 0
		.amdhsa_exception_fp_ieee_overflow 0
		.amdhsa_exception_fp_ieee_underflow 0
		.amdhsa_exception_fp_ieee_inexact 0
		.amdhsa_exception_int_div_zero 0
	.end_amdhsa_kernel
	.section	.text._ZL18rocblas_trtri_fillILi128EdPdEvP15_rocblas_handle13rocblas_fill_ililT1_llii,"axG",@progbits,_ZL18rocblas_trtri_fillILi128EdPdEvP15_rocblas_handle13rocblas_fill_ililT1_llii,comdat
.Lfunc_end4:
	.size	_ZL18rocblas_trtri_fillILi128EdPdEvP15_rocblas_handle13rocblas_fill_ililT1_llii, .Lfunc_end4-_ZL18rocblas_trtri_fillILi128EdPdEvP15_rocblas_handle13rocblas_fill_ililT1_llii
                                        ; -- End function
	.set _ZL18rocblas_trtri_fillILi128EdPdEvP15_rocblas_handle13rocblas_fill_ililT1_llii.num_vgpr, 26
	.set _ZL18rocblas_trtri_fillILi128EdPdEvP15_rocblas_handle13rocblas_fill_ililT1_llii.num_agpr, 0
	.set _ZL18rocblas_trtri_fillILi128EdPdEvP15_rocblas_handle13rocblas_fill_ililT1_llii.numbered_sgpr, 49
	.set _ZL18rocblas_trtri_fillILi128EdPdEvP15_rocblas_handle13rocblas_fill_ililT1_llii.num_named_barrier, 0
	.set _ZL18rocblas_trtri_fillILi128EdPdEvP15_rocblas_handle13rocblas_fill_ililT1_llii.private_seg_size, 0
	.set _ZL18rocblas_trtri_fillILi128EdPdEvP15_rocblas_handle13rocblas_fill_ililT1_llii.uses_vcc, 1
	.set _ZL18rocblas_trtri_fillILi128EdPdEvP15_rocblas_handle13rocblas_fill_ililT1_llii.uses_flat_scratch, 0
	.set _ZL18rocblas_trtri_fillILi128EdPdEvP15_rocblas_handle13rocblas_fill_ililT1_llii.has_dyn_sized_stack, 0
	.set _ZL18rocblas_trtri_fillILi128EdPdEvP15_rocblas_handle13rocblas_fill_ililT1_llii.has_recursion, 0
	.set _ZL18rocblas_trtri_fillILi128EdPdEvP15_rocblas_handle13rocblas_fill_ililT1_llii.has_indirect_call, 0
	.section	.AMDGPU.csdata,"",@progbits
; Kernel info:
; codeLenInByte = 1824
; TotalNumSgprs: 51
; NumVgprs: 26
; ScratchSize: 0
; MemoryBound: 0
; FloatMode: 240
; IeeeMode: 1
; LDSByteSize: 0 bytes/workgroup (compile time only)
; SGPRBlocks: 0
; VGPRBlocks: 1
; NumSGPRsForWavesPerEU: 51
; NumVGPRsForWavesPerEU: 26
; NamedBarCnt: 0
; Occupancy: 16
; WaveLimiterHint : 0
; COMPUTE_PGM_RSRC2:SCRATCH_EN: 0
; COMPUTE_PGM_RSRC2:USER_SGPR: 2
; COMPUTE_PGM_RSRC2:TRAP_HANDLER: 0
; COMPUTE_PGM_RSRC2:TGID_X_EN: 1
; COMPUTE_PGM_RSRC2:TGID_Y_EN: 0
; COMPUTE_PGM_RSRC2:TGID_Z_EN: 1
; COMPUTE_PGM_RSRC2:TIDIG_COMP_CNT: 0
	.section	.text._ZL26rocblas_trtri_small_kernelILi16EdPKdPdEv13rocblas_fill_17rocblas_diagonal_iT1_lillT2_lilli,"axG",@progbits,_ZL26rocblas_trtri_small_kernelILi16EdPKdPdEv13rocblas_fill_17rocblas_diagonal_iT1_lillT2_lilli,comdat
	.globl	_ZL26rocblas_trtri_small_kernelILi16EdPKdPdEv13rocblas_fill_17rocblas_diagonal_iT1_lillT2_lilli ; -- Begin function _ZL26rocblas_trtri_small_kernelILi16EdPKdPdEv13rocblas_fill_17rocblas_diagonal_iT1_lillT2_lilli
	.p2align	8
	.type	_ZL26rocblas_trtri_small_kernelILi16EdPKdPdEv13rocblas_fill_17rocblas_diagonal_iT1_lillT2_lilli,@function
_ZL26rocblas_trtri_small_kernelILi16EdPKdPdEv13rocblas_fill_17rocblas_diagonal_iT1_lillT2_lilli: ; @_ZL26rocblas_trtri_small_kernelILi16EdPKdPdEv13rocblas_fill_17rocblas_diagonal_iT1_lillT2_lilli
; %bb.0:
	s_load_b32 s23, s[0:1], 0x60
	s_bfe_u32 s2, ttmp6, 0x40014
	s_lshr_b32 s3, ttmp7, 16
	s_add_co_i32 s2, s2, 1
	s_bfe_u32 s4, ttmp6, 0x40008
	s_mul_i32 s2, s3, s2
	s_getreg_b32 s26, hwreg(HW_REG_IB_STS2, 6, 4)
	s_add_co_i32 s4, s4, s2
	s_cmp_eq_u32 s26, 0
	s_cselect_b32 s2, s3, s4
	s_mov_b32 s3, 0
	s_wait_kmcnt 0x0
	s_cmp_ge_u32 s2, s23
	s_cbranch_scc1 .LBB5_38
; %bb.1:
	s_clause 0x5
	s_load_b32 s28, s[0:1], 0x20
	s_load_b32 s24, s[0:1], 0x48
	s_load_b96 s[20:22], s[0:1], 0x0
	s_load_b256 s[4:11], s[0:1], 0x28
	s_load_b128 s[16:19], s[0:1], 0x10
	s_load_b128 s[12:15], s[0:1], 0x50
	s_wait_xcnt 0x0
	s_bfe_u32 s1, ttmp6, 0x4000c
	s_and_b32 s0, ttmp6, 15
	s_add_co_i32 s1, s1, 1
	s_mov_b32 s31, s3
	s_mul_i32 s1, ttmp9, s1
	s_mov_b32 s35, s3
	s_add_co_i32 s1, s0, s1
	v_mov_b32_e32 v3, 0
	s_wait_kmcnt 0x0
	s_ashr_i32 s29, s28, 31
	s_ashr_i32 s25, s24, 31
	s_cmp_eq_u32 s26, 0
	v_mul_lo_u32 v4, v0, s22
	s_cselect_b32 s30, ttmp9, s1
	s_cmp_gt_i32 s22, 0
	s_mul_u64 s[6:7], s[6:7], s[30:31]
	s_cselect_b32 s1, -1, 0
	s_cmp_lg_u32 s20, 0x7a
	s_mul_u64 s[14:15], s[14:15], s[30:31]
	s_cselect_b32 s20, -1, 0
	s_add_co_i32 s34, s22, -1
	s_delay_alu instid0(SALU_CYCLE_1)
	v_dual_lshlrev_b32 v2, 3, v0 :: v_dual_sub_nc_u32 v1, s34, v0
	s_cmp_lg_u32 s21, 0x84
	s_mul_u64 s[26:27], s[28:29], s[34:35]
	s_cselect_b32 s21, -1, 0
	s_lshl_b64 s[6:7], s[6:7], 3
	s_lshl_b64 s[18:19], s[18:19], 3
	;; [unrolled: 1-line block ×3, first 2 shown]
	s_add_nc_u64 s[36:37], s[6:7], s[18:19]
	v_lshlrev_b32_e32 v1, 3, v1
	s_add_nc_u64 s[6:7], s[36:37], s[26:27]
	s_lshl_b64 s[14:15], s[14:15], 3
	s_add_nc_u64 s[6:7], s[16:17], s[6:7]
	s_add_nc_u64 s[16:17], s[16:17], s[36:37]
	s_lshl_b64 s[10:11], s[10:11], 3
	v_add_nc_u64_e32 v[6:7], s[16:17], v[2:3]
	s_mul_u64 s[16:17], s[24:25], s[34:35]
	v_add_lshl_u32 v16, v4, v0, 3
	v_add_nc_u64_e32 v[4:5], s[6:7], v[2:3]
	s_lshl_b64 s[6:7], s[28:29], 3
	s_lshl_b64 s[28:29], s[16:17], 3
	s_add_nc_u64 s[10:11], s[14:15], s[10:11]
	s_lshl_b32 s26, s22, 3
	s_add_nc_u64 s[14:15], s[10:11], s[28:29]
	v_cmp_gt_u32_e64 s0, s22, v0
	s_add_nc_u64 s[14:15], s[8:9], s[14:15]
	s_add_nc_u64 s[8:9], s[8:9], s[10:11]
	v_add_nc_u64_e32 v[8:9], s[14:15], v[2:3]
	v_add_nc_u64_e32 v[10:11], s[8:9], v[2:3]
	v_dual_add_nc_u32 v17, 1, v0 :: v_dual_add_nc_u32 v18, s26, v2
	s_lshl_b64 s[8:9], s[24:25], 3
	s_lshl_b64 s[4:5], s[4:5], 3
	s_sub_nc_u64 s[18:19], 0, s[6:7]
	s_add_co_i32 s16, s26, 8
	s_lshl_b64 s[10:11], s[12:13], 3
	s_sub_nc_u64 s[12:13], 0, s[8:9]
	s_branch .LBB5_4
.LBB5_2:                                ;   in Loop: Header=BB5_4 Depth=1
	s_or_b32 exec_lo, exec_lo, s17
.LBB5_3:                                ;   in Loop: Header=BB5_4 Depth=1
	s_add_co_i32 s2, s2, 0x10000
	s_delay_alu instid0(SALU_CYCLE_1)
	s_cmp_lt_u32 s2, s23
	s_cbranch_scc0 .LBB5_38
.LBB5_4:                                ; =>This Loop Header: Depth=1
                                        ;     Child Loop BB5_8 Depth 2
                                        ;     Child Loop BB5_12 Depth 2
	;; [unrolled: 1-line block ×3, first 2 shown]
                                        ;       Child Loop BB5_26 Depth 3
                                        ;     Child Loop BB5_33 Depth 2
                                        ;     Child Loop BB5_37 Depth 2
	s_and_not1_b32 vcc_lo, exec_lo, s1
	s_cbranch_vccnz .LBB5_3
; %bb.5:                                ;   in Loop: Header=BB5_4 Depth=1
	s_and_saveexec_b32 s17, s0
	s_cbranch_execz .LBB5_13
; %bb.6:                                ;   in Loop: Header=BB5_4 Depth=1
	s_mul_u64 s[14:15], s[4:5], s[2:3]
	s_and_not1_b32 vcc_lo, exec_lo, s20
	s_mov_b32 s24, -1
	s_cbranch_vccnz .LBB5_10
; %bb.7:                                ;   in Loop: Header=BB5_4 Depth=1
	v_add_nc_u64_e32 v[12:13], s[14:15], v[4:5]
	v_mov_b32_e32 v3, v1
	s_mov_b32 s24, 0
	s_mov_b32 s25, s22
.LBB5_8:                                ;   Parent Loop BB5_4 Depth=1
                                        ; =>  This Inner Loop Header: Depth=2
	global_load_b64 v[14:15], v[12:13], off
	s_add_co_i32 s25, s25, -1
	s_wait_xcnt 0x0
	v_add_nc_u64_e32 v[12:13], s[18:19], v[12:13]
	v_cmp_le_u32_e32 vcc_lo, s25, v0
	s_or_b32 s24, vcc_lo, s24
	s_wait_loadcnt 0x0
	ds_store_b64 v3, v[14:15]
	v_add_nc_u32_e32 v3, s26, v3
	s_and_not1_b32 exec_lo, exec_lo, s24
	s_cbranch_execnz .LBB5_8
; %bb.9:                                ;   in Loop: Header=BB5_4 Depth=1
	s_or_b32 exec_lo, exec_lo, s24
	s_mov_b32 s24, 0
.LBB5_10:                               ;   in Loop: Header=BB5_4 Depth=1
	s_delay_alu instid0(SALU_CYCLE_1)
	s_and_b32 vcc_lo, exec_lo, s24
	s_cbranch_vccz .LBB5_13
; %bb.11:                               ;   in Loop: Header=BB5_4 Depth=1
	v_add_nc_u64_e32 v[12:13], s[14:15], v[6:7]
	v_dual_mov_b32 v3, v2 :: v_dual_mov_b32 v14, v17
	s_mov_b32 s14, 0
.LBB5_12:                               ;   Parent Loop BB5_4 Depth=1
                                        ; =>  This Inner Loop Header: Depth=2
	global_load_b64 v[20:21], v[12:13], off
	v_add_nc_u32_e32 v14, -1, v14
	s_wait_xcnt 0x0
	v_add_nc_u64_e32 v[12:13], s[6:7], v[12:13]
	s_wait_loadcnt 0x0
	ds_store_b64 v3, v[20:21]
	v_add_nc_u32_e32 v3, s26, v3
	v_cmp_eq_u32_e32 vcc_lo, 0, v14
	s_or_b32 s14, vcc_lo, s14
	s_delay_alu instid0(SALU_CYCLE_1)
	s_and_not1_b32 exec_lo, exec_lo, s14
	s_cbranch_execnz .LBB5_12
.LBB5_13:                               ;   in Loop: Header=BB5_4 Depth=1
	s_or_b32 exec_lo, exec_lo, s17
	s_wait_dscnt 0x0
	; wave barrier
	s_and_saveexec_b32 s14, s0
	s_cbranch_execz .LBB5_19
; %bb.14:                               ;   in Loop: Header=BB5_4 Depth=1
	v_mov_b64_e32 v[14:15], 1.0
	s_and_not1_b32 vcc_lo, exec_lo, s21
	s_cbranch_vccnz .LBB5_18
; %bb.15:                               ;   in Loop: Header=BB5_4 Depth=1
	ds_load_b64 v[12:13], v16
	v_mov_b64_e32 v[14:15], 1.0
	s_mov_b32 s15, exec_lo
	s_wait_dscnt 0x0
	v_cmpx_neq_f64_e32 0, v[12:13]
	s_cbranch_execz .LBB5_17
; %bb.16:                               ;   in Loop: Header=BB5_4 Depth=1
	v_div_scale_f64 v[14:15], null, v[12:13], v[12:13], 1.0
	s_delay_alu instid0(VALU_DEP_1) | instskip(SKIP_1) | instid1(TRANS32_DEP_1)
	v_rcp_f64_e32 v[20:21], v[14:15]
	v_nop
	v_fma_f64 v[22:23], -v[14:15], v[20:21], 1.0
	s_delay_alu instid0(VALU_DEP_1) | instskip(NEXT) | instid1(VALU_DEP_1)
	v_fmac_f64_e32 v[20:21], v[20:21], v[22:23]
	v_fma_f64 v[22:23], -v[14:15], v[20:21], 1.0
	s_delay_alu instid0(VALU_DEP_1) | instskip(SKIP_1) | instid1(VALU_DEP_1)
	v_fmac_f64_e32 v[20:21], v[20:21], v[22:23]
	v_div_scale_f64 v[22:23], vcc_lo, 1.0, v[12:13], 1.0
	v_mul_f64_e32 v[24:25], v[22:23], v[20:21]
	s_delay_alu instid0(VALU_DEP_1) | instskip(NEXT) | instid1(VALU_DEP_1)
	v_fma_f64 v[14:15], -v[14:15], v[24:25], v[22:23]
	v_div_fmas_f64 v[14:15], v[14:15], v[20:21], v[24:25]
	s_delay_alu instid0(VALU_DEP_1)
	v_div_fixup_f64 v[14:15], v[14:15], v[12:13], 1.0
.LBB5_17:                               ;   in Loop: Header=BB5_4 Depth=1
	s_or_b32 exec_lo, exec_lo, s15
.LBB5_18:                               ;   in Loop: Header=BB5_4 Depth=1
	ds_store_b64 v16, v[14:15]
.LBB5_19:                               ;   in Loop: Header=BB5_4 Depth=1
	s_or_b32 exec_lo, exec_lo, s14
	v_mov_b32_e32 v3, v18
	s_mov_b32 s14, 0
	s_mov_b32 s15, 8
	s_wait_dscnt 0x0
	; wave barrier
	s_branch .LBB5_21
.LBB5_20:                               ;   in Loop: Header=BB5_21 Depth=2
	v_add_nc_u32_e32 v3, s26, v3
	s_add_co_i32 s15, s15, s16
	s_cmp_eq_u32 s14, s22
	; wave barrier
	s_cbranch_scc1 .LBB5_30
.LBB5_21:                               ;   Parent Loop BB5_4 Depth=1
                                        ; =>  This Loop Header: Depth=2
                                        ;       Child Loop BB5_26 Depth 3
	v_mov_b64_e32 v[12:13], 0
	s_mul_i32 s17, s14, s22
	s_mov_b32 s24, exec_lo
	v_cmpx_lt_u32_e64 s14, v0
	s_cbranch_execz .LBB5_23
; %bb.22:                               ;   in Loop: Header=BB5_21 Depth=2
	s_lshl_b32 s25, s14, 3
	s_lshl_b32 s27, s17, 3
	s_delay_alu instid0(SALU_CYCLE_1) | instskip(NEXT) | instid1(SALU_CYCLE_1)
	s_add_co_i32 s25, s25, s27
	v_dual_add_nc_u32 v12, s27, v2 :: v_dual_mov_b32 v14, s25
	ds_load_b64 v[12:13], v12
	ds_load_b64 v[14:15], v14
	s_wait_dscnt 0x0
	v_fma_f64 v[12:13], v[12:13], v[14:15], 0
.LBB5_23:                               ;   in Loop: Header=BB5_21 Depth=2
	s_or_b32 exec_lo, exec_lo, s24
	s_add_co_i32 s14, s14, 1
	s_delay_alu instid0(SALU_CYCLE_1)
	s_cmp_ge_i32 s14, s22
	; wave barrier
	s_cbranch_scc1 .LBB5_20
; %bb.24:                               ;   in Loop: Header=BB5_21 Depth=2
	v_lshl_add_u32 v14, s17, 3, v2
	v_mov_b32_e32 v15, v3
	s_mov_b32 s17, s15
	s_mov_b32 s24, s14
	s_branch .LBB5_26
.LBB5_25:                               ;   in Loop: Header=BB5_26 Depth=3
	s_or_b32 exec_lo, exec_lo, s25
	v_add_nc_u32_e32 v15, s26, v15
	s_add_co_i32 s24, s24, 1
	s_add_co_i32 s17, s17, 8
	s_cmp_eq_u32 s22, s24
	; wave barrier
	s_cbranch_scc1 .LBB5_20
.LBB5_26:                               ;   Parent Loop BB5_4 Depth=1
                                        ;     Parent Loop BB5_21 Depth=2
                                        ; =>    This Inner Loop Header: Depth=3
	s_mov_b32 s25, exec_lo
	v_cmpx_eq_u32_e64 s24, v0
	s_cbranch_execz .LBB5_28
; %bb.27:                               ;   in Loop: Header=BB5_26 Depth=3
	s_delay_alu instid0(VALU_DEP_3)
	v_add_f64_e64 v[20:21], -v[12:13], 0
	ds_load_b64 v[22:23], v16
	s_wait_dscnt 0x0
	v_mul_f64_e32 v[20:21], v[20:21], v[22:23]
	ds_store_b64 v14, v[20:21]
.LBB5_28:                               ;   in Loop: Header=BB5_26 Depth=3
	s_or_b32 exec_lo, exec_lo, s25
	s_delay_alu instid0(SALU_CYCLE_1)
	s_mov_b32 s25, exec_lo
	s_wait_dscnt 0x0
	; wave barrier
	v_cmpx_lt_u32_e64 s24, v0
	s_cbranch_execz .LBB5_25
; %bb.29:                               ;   in Loop: Header=BB5_26 Depth=3
	v_mov_b32_e32 v19, s17
	ds_load_b64 v[20:21], v15
	ds_load_b64 v[22:23], v19
	s_wait_dscnt 0x0
	v_fmac_f64_e32 v[12:13], v[20:21], v[22:23]
	s_branch .LBB5_25
.LBB5_30:                               ;   in Loop: Header=BB5_4 Depth=1
	s_and_saveexec_b32 s17, s0
	s_cbranch_execz .LBB5_2
; %bb.31:                               ;   in Loop: Header=BB5_4 Depth=1
	s_mul_u64 s[14:15], s[10:11], s[2:3]
	s_and_not1_b32 vcc_lo, exec_lo, s20
	s_mov_b32 s24, -1
	s_cbranch_vccnz .LBB5_35
; %bb.32:                               ;   in Loop: Header=BB5_4 Depth=1
	v_add_nc_u64_e32 v[12:13], s[14:15], v[8:9]
	v_mov_b32_e32 v3, v1
	s_mov_b32 s24, 0
	s_mov_b32 s25, s22
.LBB5_33:                               ;   Parent Loop BB5_4 Depth=1
                                        ; =>  This Inner Loop Header: Depth=2
	ds_load_b64 v[14:15], v3
	s_add_co_i32 s25, s25, -1
	v_add_nc_u32_e32 v3, s26, v3
	v_cmp_le_u32_e32 vcc_lo, s25, v0
	s_or_b32 s24, vcc_lo, s24
	s_wait_dscnt 0x0
	global_store_b64 v[12:13], v[14:15], off
	s_wait_xcnt 0x0
	v_add_nc_u64_e32 v[12:13], s[12:13], v[12:13]
	s_and_not1_b32 exec_lo, exec_lo, s24
	s_cbranch_execnz .LBB5_33
; %bb.34:                               ;   in Loop: Header=BB5_4 Depth=1
	s_or_b32 exec_lo, exec_lo, s24
	s_mov_b32 s24, 0
.LBB5_35:                               ;   in Loop: Header=BB5_4 Depth=1
	s_delay_alu instid0(SALU_CYCLE_1)
	s_and_b32 vcc_lo, exec_lo, s24
	s_cbranch_vccz .LBB5_2
; %bb.36:                               ;   in Loop: Header=BB5_4 Depth=1
	v_add_nc_u64_e32 v[12:13], s[14:15], v[10:11]
	v_dual_mov_b32 v3, v2 :: v_dual_mov_b32 v14, v17
	s_mov_b32 s14, 0
.LBB5_37:                               ;   Parent Loop BB5_4 Depth=1
                                        ; =>  This Inner Loop Header: Depth=2
	ds_load_b64 v[20:21], v3
	v_dual_add_nc_u32 v14, -1, v14 :: v_dual_add_nc_u32 v3, s26, v3
	s_delay_alu instid0(VALU_DEP_1)
	v_cmp_eq_u32_e32 vcc_lo, 0, v14
	s_or_b32 s14, vcc_lo, s14
	s_wait_dscnt 0x0
	global_store_b64 v[12:13], v[20:21], off
	s_wait_xcnt 0x0
	v_add_nc_u64_e32 v[12:13], s[8:9], v[12:13]
	s_and_not1_b32 exec_lo, exec_lo, s14
	s_cbranch_execnz .LBB5_37
	s_branch .LBB5_2
.LBB5_38:
	s_endpgm
	.section	.rodata,"a",@progbits
	.p2align	6, 0x0
	.amdhsa_kernel _ZL26rocblas_trtri_small_kernelILi16EdPKdPdEv13rocblas_fill_17rocblas_diagonal_iT1_lillT2_lilli
		.amdhsa_group_segment_fixed_size 2048
		.amdhsa_private_segment_fixed_size 0
		.amdhsa_kernarg_size 100
		.amdhsa_user_sgpr_count 2
		.amdhsa_user_sgpr_dispatch_ptr 0
		.amdhsa_user_sgpr_queue_ptr 0
		.amdhsa_user_sgpr_kernarg_segment_ptr 1
		.amdhsa_user_sgpr_dispatch_id 0
		.amdhsa_user_sgpr_kernarg_preload_length 0
		.amdhsa_user_sgpr_kernarg_preload_offset 0
		.amdhsa_user_sgpr_private_segment_size 0
		.amdhsa_wavefront_size32 1
		.amdhsa_uses_dynamic_stack 0
		.amdhsa_enable_private_segment 0
		.amdhsa_system_sgpr_workgroup_id_x 1
		.amdhsa_system_sgpr_workgroup_id_y 0
		.amdhsa_system_sgpr_workgroup_id_z 1
		.amdhsa_system_sgpr_workgroup_info 0
		.amdhsa_system_vgpr_workitem_id 0
		.amdhsa_next_free_vgpr 26
		.amdhsa_next_free_sgpr 38
		.amdhsa_named_barrier_count 0
		.amdhsa_reserve_vcc 1
		.amdhsa_float_round_mode_32 0
		.amdhsa_float_round_mode_16_64 0
		.amdhsa_float_denorm_mode_32 3
		.amdhsa_float_denorm_mode_16_64 3
		.amdhsa_fp16_overflow 0
		.amdhsa_memory_ordered 1
		.amdhsa_forward_progress 1
		.amdhsa_inst_pref_size 11
		.amdhsa_round_robin_scheduling 0
		.amdhsa_exception_fp_ieee_invalid_op 0
		.amdhsa_exception_fp_denorm_src 0
		.amdhsa_exception_fp_ieee_div_zero 0
		.amdhsa_exception_fp_ieee_overflow 0
		.amdhsa_exception_fp_ieee_underflow 0
		.amdhsa_exception_fp_ieee_inexact 0
		.amdhsa_exception_int_div_zero 0
	.end_amdhsa_kernel
	.section	.text._ZL26rocblas_trtri_small_kernelILi16EdPKdPdEv13rocblas_fill_17rocblas_diagonal_iT1_lillT2_lilli,"axG",@progbits,_ZL26rocblas_trtri_small_kernelILi16EdPKdPdEv13rocblas_fill_17rocblas_diagonal_iT1_lillT2_lilli,comdat
.Lfunc_end5:
	.size	_ZL26rocblas_trtri_small_kernelILi16EdPKdPdEv13rocblas_fill_17rocblas_diagonal_iT1_lillT2_lilli, .Lfunc_end5-_ZL26rocblas_trtri_small_kernelILi16EdPKdPdEv13rocblas_fill_17rocblas_diagonal_iT1_lillT2_lilli
                                        ; -- End function
	.set _ZL26rocblas_trtri_small_kernelILi16EdPKdPdEv13rocblas_fill_17rocblas_diagonal_iT1_lillT2_lilli.num_vgpr, 26
	.set _ZL26rocblas_trtri_small_kernelILi16EdPKdPdEv13rocblas_fill_17rocblas_diagonal_iT1_lillT2_lilli.num_agpr, 0
	.set _ZL26rocblas_trtri_small_kernelILi16EdPKdPdEv13rocblas_fill_17rocblas_diagonal_iT1_lillT2_lilli.numbered_sgpr, 38
	.set _ZL26rocblas_trtri_small_kernelILi16EdPKdPdEv13rocblas_fill_17rocblas_diagonal_iT1_lillT2_lilli.num_named_barrier, 0
	.set _ZL26rocblas_trtri_small_kernelILi16EdPKdPdEv13rocblas_fill_17rocblas_diagonal_iT1_lillT2_lilli.private_seg_size, 0
	.set _ZL26rocblas_trtri_small_kernelILi16EdPKdPdEv13rocblas_fill_17rocblas_diagonal_iT1_lillT2_lilli.uses_vcc, 1
	.set _ZL26rocblas_trtri_small_kernelILi16EdPKdPdEv13rocblas_fill_17rocblas_diagonal_iT1_lillT2_lilli.uses_flat_scratch, 0
	.set _ZL26rocblas_trtri_small_kernelILi16EdPKdPdEv13rocblas_fill_17rocblas_diagonal_iT1_lillT2_lilli.has_dyn_sized_stack, 0
	.set _ZL26rocblas_trtri_small_kernelILi16EdPKdPdEv13rocblas_fill_17rocblas_diagonal_iT1_lillT2_lilli.has_recursion, 0
	.set _ZL26rocblas_trtri_small_kernelILi16EdPKdPdEv13rocblas_fill_17rocblas_diagonal_iT1_lillT2_lilli.has_indirect_call, 0
	.section	.AMDGPU.csdata,"",@progbits
; Kernel info:
; codeLenInByte = 1288
; TotalNumSgprs: 40
; NumVgprs: 26
; ScratchSize: 0
; MemoryBound: 0
; FloatMode: 240
; IeeeMode: 1
; LDSByteSize: 2048 bytes/workgroup (compile time only)
; SGPRBlocks: 0
; VGPRBlocks: 1
; NumSGPRsForWavesPerEU: 40
; NumVGPRsForWavesPerEU: 26
; NamedBarCnt: 0
; Occupancy: 16
; WaveLimiterHint : 0
; COMPUTE_PGM_RSRC2:SCRATCH_EN: 0
; COMPUTE_PGM_RSRC2:USER_SGPR: 2
; COMPUTE_PGM_RSRC2:TRAP_HANDLER: 0
; COMPUTE_PGM_RSRC2:TGID_X_EN: 1
; COMPUTE_PGM_RSRC2:TGID_Y_EN: 0
; COMPUTE_PGM_RSRC2:TGID_Z_EN: 1
; COMPUTE_PGM_RSRC2:TIDIG_COMP_CNT: 0
	.section	.text._ZL29rocblas_trtri_diagonal_kernelILi16EdPKdPdEv13rocblas_fill_17rocblas_diagonal_iT1_lillT2_lilli,"axG",@progbits,_ZL29rocblas_trtri_diagonal_kernelILi16EdPKdPdEv13rocblas_fill_17rocblas_diagonal_iT1_lillT2_lilli,comdat
	.globl	_ZL29rocblas_trtri_diagonal_kernelILi16EdPKdPdEv13rocblas_fill_17rocblas_diagonal_iT1_lillT2_lilli ; -- Begin function _ZL29rocblas_trtri_diagonal_kernelILi16EdPKdPdEv13rocblas_fill_17rocblas_diagonal_iT1_lillT2_lilli
	.p2align	8
	.type	_ZL29rocblas_trtri_diagonal_kernelILi16EdPKdPdEv13rocblas_fill_17rocblas_diagonal_iT1_lillT2_lilli,@function
_ZL29rocblas_trtri_diagonal_kernelILi16EdPKdPdEv13rocblas_fill_17rocblas_diagonal_iT1_lillT2_lilli: ; @_ZL29rocblas_trtri_diagonal_kernelILi16EdPKdPdEv13rocblas_fill_17rocblas_diagonal_iT1_lillT2_lilli
; %bb.0:
	s_load_b32 s7, s[0:1], 0x60
	s_bfe_u32 s2, ttmp6, 0x40014
	s_lshr_b32 s3, ttmp7, 16
	s_add_co_i32 s2, s2, 1
	s_bfe_u32 s5, ttmp6, 0x40008
	s_mul_i32 s4, s3, s2
	s_getreg_b32 s2, hwreg(HW_REG_IB_STS2, 6, 4)
	s_add_co_i32 s5, s5, s4
	s_cmp_eq_u32 s2, 0
	s_mov_b32 s25, 0
	s_cselect_b32 s24, s3, s5
	s_wait_kmcnt 0x0
	s_cmp_ge_u32 s24, s7
	s_cbranch_scc1 .LBB6_81
; %bb.1:
	s_clause 0x5
	s_load_b96 s[4:6], s[0:1], 0x0
	s_load_b128 s[20:23], s[0:1], 0x10
	s_load_b32 s28, s[0:1], 0x20
	s_load_b32 s30, s[0:1], 0x48
	s_load_b256 s[8:15], s[0:1], 0x28
	s_load_b128 s[16:19], s[0:1], 0x50
	s_bfe_u32 s29, ttmp6, 0x4000c
	s_wait_xcnt 0x0
	s_and_b32 s0, ttmp6, 15
	s_add_co_i32 s29, s29, 1
	s_mov_b32 s1, s25
	s_mul_i32 s29, ttmp9, s29
	v_cvt_f32_ubyte0_e32 v4, v0
	s_add_co_i32 s0, s0, s29
	s_mov_b32 s27, s25
	s_mov_b32 s45, s25
	v_dual_mov_b32 v3, 0 :: v_dual_lshlrev_b32 v2, 3, v0
	s_delay_alu instid0(VALU_DEP_1) | instskip(SKIP_4) | instid1(SALU_CYCLE_1)
	v_dual_mov_b32 v5, v3 :: v_dual_mov_b32 v19, v3
	s_wait_kmcnt 0x0
	s_ashr_i32 s3, s6, 31
	s_ashr_i32 s29, s28, 31
	s_lshr_b32 s3, s3, 27
	s_add_co_i32 s3, s6, s3
	s_delay_alu instid0(SALU_CYCLE_1) | instskip(NEXT) | instid1(SALU_CYCLE_1)
	s_ashr_i32 s26, s3, 5
	s_cvt_f32_u32 s3, s26
	s_sub_co_i32 s34, 0, s26
	s_delay_alu instid0(SALU_CYCLE_2) | instskip(SKIP_2) | instid1(TRANS32_DEP_1)
	v_rcp_iflag_f32_e32 v1, s3
	s_mov_b32 s3, s25
	v_nop
	v_readfirstlane_b32 s31, v1
	s_mul_f32 s31, s31, 0x4f7ffffe
	s_delay_alu instid0(SALU_CYCLE_3) | instskip(SKIP_1) | instid1(SALU_CYCLE_2)
	s_cvt_u32_f32 s33, s31
	s_ashr_i32 s31, s30, 31
	s_mul_i32 s36, s34, s33
	s_lshl_b64 s[34:35], s[14:15], 3
	s_mul_hi_u32 s14, s33, s36
	s_lshl_b64 s[36:37], s[28:29], 5
	s_add_co_i32 s33, s33, s14
	s_cmp_eq_u32 s2, 0
	s_add_nc_u64 s[40:41], s[12:13], s[34:35]
	s_cselect_b32 s0, ttmp9, s0
	s_mov_b32 s15, s25
	s_mul_hi_u32 s2, s0, s33
	s_delay_alu instid0(SALU_CYCLE_1) | instskip(SKIP_2) | instid1(SALU_CYCLE_1)
	s_mul_i32 s14, s2, s26
	s_add_co_i32 s33, s2, 1
	s_sub_co_i32 s14, s0, s14
	s_sub_co_i32 s38, s14, s26
	s_cmp_ge_u32 s14, s26
	s_cselect_b32 s2, s33, s2
	s_cselect_b32 s14, s38, s14
	s_add_co_i32 s33, s2, 1
	s_cmp_ge_u32 s14, s26
	s_add_nc_u64 s[38:39], s[36:37], 32
	s_cselect_b32 s2, s33, s2
	s_lshl_b64 s[36:37], s[30:31], 5
	s_mul_i32 s14, s2, s26
	s_add_nc_u64 s[42:43], s[36:37], 32
	s_sub_co_i32 s0, s0, s14
	s_mul_u64 s[18:19], s[18:19], s[2:3]
	s_mul_u64 s[46:47], s[10:11], s[2:3]
	;; [unrolled: 1-line block ×3, first 2 shown]
	s_lshl_b32 s10, s0, 4
	s_mul_u64 s[48:49], s[38:39], s[0:1]
	s_lshl_b64 s[38:39], s[2:3], 3
	s_sub_co_i32 s2, s6, s10
	s_lshl_b64 s[36:37], s[18:19], 3
	s_min_u32 s26, s2, 16
	s_cmp_lg_u32 s6, s10
	v_cvt_f32_ubyte0_e32 v8, s26
	s_mul_u64 s[2:3], s[26:27], s[28:29]
	s_cselect_b32 s33, -1, 0
	s_lshl_b32 s6, s26, 1
	s_add_nc_u64 s[50:51], s[2:3], s[26:27]
	v_rcp_iflag_f32_e32 v7, v8
	v_mov_b32_e32 v6, s26
	v_cmp_gt_u32_e64 s2, s6, v0
	s_cmp_lg_u32 s4, 0x7a
	s_add_nc_u64 s[0:1], s[40:41], s[38:39]
	s_cselect_b32 s40, -1, 0
	s_cmp_lg_u32 s5, 0x84
	v_mul_f32_e32 v9, v4, v7
	s_cselect_b32 s41, -1, 0
	s_add_co_i32 s44, s26, -1
	s_lshl_b64 s[4:5], s[46:47], 3
	s_lshl_b64 s[46:47], s[48:49], 3
	v_trunc_f32_e32 v9, v9
	v_cndmask_b32_e64 v10, s6, v6, s2
	s_lshl_b32 s14, s26, 3
	s_add_nc_u64 s[46:47], s[4:5], s[46:47]
	s_lshl_b64 s[4:5], s[44:45], 3
	v_fma_f32 v4, -v9, v8, v4
	v_cmp_gt_u32_e32 vcc_lo, s26, v0
	v_cvt_u32_f32_e32 v9, v9
	s_add_nc_u64 s[48:49], s[14:15], s[4:5]
	v_cmp_le_u32_e64 s3, s6, v0
	v_cmp_ge_f32_e64 s4, |v4|, v8
	v_cndmask_b32_e64 v7, s51, 0, vcc_lo
	v_cndmask_b32_e64 v6, s50, 0, vcc_lo
	s_lshl_b64 s[22:23], s[22:23], 3
	s_mul_i32 s6, s26, s44
	v_add_co_ci_u32_e64 v14, null, 0, v9, s4
	s_delay_alu instid0(VALU_DEP_2) | instskip(SKIP_2) | instid1(VALU_DEP_3)
	v_lshlrev_b64_e32 v[8:9], 3, v[6:7]
	s_mul_u64 s[44:45], s[28:29], s[44:45]
	v_cndmask_b32_e64 v22, v10, 0, vcc_lo
	v_mul_lo_u16 v10, v14, s26
	s_add_nc_u64 s[46:47], s[46:47], s[22:23]
	s_lshl_b64 s[4:5], s[44:45], 3
	s_add_nc_u64 s[10:11], s[0:1], s[36:37]
	s_mul_i32 s0, s26, 3
	s_mul_i32 s1, s26, s26
	s_add_nc_u64 s[44:45], s[46:47], s[4:5]
	v_cmp_gt_u32_e64 s0, s0, v0
	v_cmp_gt_u32_e64 s1, s1, v0
	v_cndmask_b32_e64 v1, 0, 0x1800, s2
	v_dual_sub_nc_u32 v4, v0, v22 :: v_dual_lshlrev_b32 v18, 3, v22
	v_sub_nc_u16 v0, v0, v10
	v_lshl_add_u32 v13, s6, 3, v2
	v_and_b32_e32 v6, 0xffff, v14
	v_cmp_gt_u16_e64 s6, 16, v14
	v_add_nc_u64_e32 v[14:15], s[44:45], v[8:9]
	v_add_nc_u64_e32 v[16:17], s[46:47], v[8:9]
	s_add_co_i32 s42, s26, 1
	s_mul_u64 s[22:23], s[48:49], s[28:29]
	v_cndmask_b32_e64 v1, v1, 0x1000, vcc_lo
	v_and_b32_e32 v0, 0xffff, v0
	v_mul_i32_i24_e32 v7, s42, v4
	s_add_nc_u64 s[4:5], s[46:47], s[22:23]
	v_add_nc_u64_e32 v[14:15], v[14:15], v[2:3]
	v_add_nc_u64_e32 v[10:11], s[4:5], v[2:3]
	;; [unrolled: 1-line block ×3, first 2 shown]
	v_dual_add_nc_u32 v12, s26, v4 :: v_dual_lshlrev_b32 v31, 7, v6
	v_lshlrev_b32_e32 v29, 3, v0
	v_lshl_add_u32 v30, v7, 3, v1
	v_dual_mov_b32 v7, v3 :: v_dual_sub_nc_u32 v13, v13, v18
	v_add_nc_u32_e32 v24, s26, v0
	s_mul_u64 s[18:19], s[26:27], s[30:31]
	v_sub_nc_u64_e32 v[10:11], v[10:11], v[18:19]
	s_delay_alu instid0(VALU_DEP_3)
	v_mul_u64_e32 v[8:9], s[30:31], v[6:7]
	v_dual_add_nc_u32 v7, v1, v13 :: v_dual_ashrrev_i32 v13, 31, v12
	v_add_lshl_u32 v22, v22, s26, 3
	v_sub_nc_u64_e32 v[14:15], v[14:15], v[18:19]
	v_sub_nc_u64_e32 v[16:17], v[16:17], v[18:19]
	s_add_nc_u64 s[52:53], s[18:19], s[26:27]
	s_add_nc_u64 s[44:45], s[20:21], s[46:47]
	v_cndmask_b32_e64 v21, s53, 0, vcc_lo
	v_cndmask_b32_e64 v20, s52, 0, vcc_lo
	v_dual_sub_nc_u32 v22, v22, v2 :: v_dual_sub_nc_u32 v26, s14, v29
	v_lshl_add_u64 v[12:13], v[12:13], 3, s[44:45]
	s_add_nc_u64 s[44:45], s[26:27], -1
	v_add_nc_u64_e32 v[10:11], s[20:21], v[10:11]
	v_add_nc_u64_e32 v[14:15], s[20:21], v[14:15]
	;; [unrolled: 1-line block ×3, first 2 shown]
	s_mul_u64 s[20:21], s[44:45], s[30:31]
	v_lshlrev_b64_e32 v[20:21], 3, v[20:21]
	s_lshl_b64 s[20:21], s[20:21], 3
	s_add_nc_u64 s[36:37], s[36:37], s[38:39]
	v_add3_u32 v33, v22, v1, -8
	v_dual_add_nc_u32 v22, s14, v2 :: v_dual_bitop2_b32 v34, 8, v1 bitop3:0x54
	s_add_nc_u64 s[20:21], s[36:37], s[20:21]
	v_mul_u32_u24_e32 v25, s26, v6
	s_add_nc_u64 s[20:21], s[34:35], s[20:21]
	s_delay_alu instid0(VALU_DEP_2)
	v_sub_nc_u32_e32 v27, v22, v18
	v_add_nc_u64_e32 v[22:23], s[20:21], v[20:21]
	s_movk_i32 s20, 0x88
	v_mul_lo_u32 v26, s26, v26
	v_mad_u32_u24 v38, v6, s20, 0x1000
	s_add_nc_u64 s[20:21], s[34:35], s[36:37]
	v_lshl_add_u32 v28, v4, 3, v1
	v_add_nc_u64_e32 v[20:21], s[20:21], v[20:21]
	v_add_nc_u64_e32 v[22:23], v[22:23], v[2:3]
	v_lshlrev_b32_e32 v2, 3, v25
	v_cmp_gt_i32_e64 s4, s26, v4
	v_cmp_lt_i32_e64 s5, -1, v4
	v_add_nc_u32_e32 v32, 0x800, v29
	v_dual_add_nc_u32 v35, v1, v27 :: v_dual_add_nc_u32 v37, -1, v6
	v_sub_nc_u64_e32 v[18:19], v[22:23], v[18:19]
	v_lshl_add_u64 v[20:21], v[4:5], 3, v[20:21]
	v_dual_sub_nc_u32 v25, v26, v29 :: v_dual_add_nc_u32 v39, v31, v29
	v_sub_nc_u32_e32 v36, 0x1ff8, v31
	v_dual_add_nc_u32 v40, -1, v0 :: v_dual_lshlrev_b32 v22, 3, v0
	v_add_nc_u64_e32 v[18:19], s[12:13], v[18:19]
	v_add_nc_u64_e32 v[20:21], s[12:13], v[20:21]
	v_add3_u32 v41, v2, v29, 0x800
	v_add_nc_u32_e32 v42, 0xff8, v25
	v_add_nc_u32_e32 v5, 0x800, v2
	;; [unrolled: 1-line block ×4, first 2 shown]
	v_lshlrev_b32_e32 v2, 3, v24
	s_lshl_b64 s[22:23], s[28:29], 3
	s_lshl_b64 s[12:13], s[30:31], 3
	s_sub_co_i32 s15, 0, s14
	s_lshl_b64 s[8:9], s[8:9], 3
	s_sub_nc_u64 s[28:29], 0, s[22:23]
	s_add_co_i32 s27, s14, 8
	s_lshl_b64 s[20:21], s[16:17], 3
	s_sub_nc_u64 s[30:31], 0, s[12:13]
	s_branch .LBB6_4
.LBB6_2:                                ;   in Loop: Header=BB6_4 Depth=1
	s_or_b32 exec_lo, exec_lo, s36
.LBB6_3:                                ;   in Loop: Header=BB6_4 Depth=1
	s_add_co_i32 s24, s24, 0x10000
	s_delay_alu instid0(SALU_CYCLE_1)
	s_cmp_lt_u32 s24, s7
	s_cbranch_scc0 .LBB6_81
.LBB6_4:                                ; =>This Loop Header: Depth=1
                                        ;     Child Loop BB6_9 Depth 2
                                        ;     Child Loop BB6_13 Depth 2
	;; [unrolled: 1-line block ×5, first 2 shown]
                                        ;       Child Loop BB6_41 Depth 3
                                        ;     Child Loop BB6_48 Depth 2
                                        ;     Child Loop BB6_55 Depth 2
	;; [unrolled: 1-line block ×6, first 2 shown]
	s_and_not1_b32 vcc_lo, exec_lo, s33
	s_cbranch_vccnz .LBB6_3
; %bb.5:                                ;   in Loop: Header=BB6_4 Depth=1
	s_mul_u64 s[34:35], s[8:9], s[24:25]
	s_and_saveexec_b32 s36, s3
	s_delay_alu instid0(SALU_CYCLE_1)
	s_xor_b32 s36, exec_lo, s36
	s_cbranch_execz .LBB6_15
; %bb.6:                                ;   in Loop: Header=BB6_4 Depth=1
	s_and_saveexec_b32 s37, s0
	s_cbranch_execz .LBB6_14
; %bb.7:                                ;   in Loop: Header=BB6_4 Depth=1
	s_and_not1_b32 vcc_lo, exec_lo, s40
	s_mov_b32 s38, -1
	s_cbranch_vccnz .LBB6_11
; %bb.8:                                ;   in Loop: Header=BB6_4 Depth=1
	v_add_nc_u64_e32 v[24:25], s[34:35], v[10:11]
	v_mov_b32_e32 v23, v7
	s_mov_b32 s38, s42
.LBB6_9:                                ;   Parent Loop BB6_4 Depth=1
                                        ; =>  This Inner Loop Header: Depth=2
	global_load_b64 v[26:27], v[24:25], off
	s_wait_xcnt 0x0
	v_add_nc_u64_e32 v[24:25], s[28:29], v[24:25]
	s_add_co_i32 s38, s38, -1
	s_delay_alu instid0(SALU_CYCLE_1)
	s_cmp_gt_u32 s38, 1
	s_wait_loadcnt 0x0
	ds_store_b64 v23, v[26:27]
	v_add_nc_u32_e32 v23, s15, v23
	s_cbranch_scc1 .LBB6_9
; %bb.10:                               ;   in Loop: Header=BB6_4 Depth=1
	s_mov_b32 s38, 0
.LBB6_11:                               ;   in Loop: Header=BB6_4 Depth=1
	s_delay_alu instid0(SALU_CYCLE_1)
	s_and_b32 vcc_lo, exec_lo, s38
	s_cbranch_vccz .LBB6_14
; %bb.12:                               ;   in Loop: Header=BB6_4 Depth=1
	v_add_nc_u64_e32 v[24:25], s[34:35], v[12:13]
	v_mov_b32_e32 v23, v28
	s_mov_b32 s38, s26
.LBB6_13:                               ;   Parent Loop BB6_4 Depth=1
                                        ; =>  This Inner Loop Header: Depth=2
	global_load_b64 v[26:27], v[24:25], off
	s_wait_xcnt 0x0
	v_add_nc_u64_e32 v[24:25], s[22:23], v[24:25]
	s_add_co_i32 s38, s38, -1
	s_delay_alu instid0(SALU_CYCLE_1)
	s_cmp_eq_u32 s38, 0
	s_wait_loadcnt 0x0
	ds_store_b64 v23, v[26:27]
	v_add_nc_u32_e32 v23, s14, v23
	s_cbranch_scc0 .LBB6_13
.LBB6_14:                               ;   in Loop: Header=BB6_4 Depth=1
	s_or_b32 exec_lo, exec_lo, s37
.LBB6_15:                               ;   in Loop: Header=BB6_4 Depth=1
	s_and_not1_saveexec_b32 s36, s36
	s_cbranch_execz .LBB6_27
; %bb.16:                               ;   in Loop: Header=BB6_4 Depth=1
	s_and_b32 vcc_lo, exec_lo, s40
	s_mov_b32 s37, -1
	s_cbranch_vccz .LBB6_22
; %bb.17:                               ;   in Loop: Header=BB6_4 Depth=1
	v_add_nc_u64_e32 v[24:25], s[34:35], v[14:15]
	v_mov_b32_e32 v23, v33
	s_mov_b32 s37, s26
	s_branch .LBB6_19
.LBB6_18:                               ;   in Loop: Header=BB6_19 Depth=2
	s_wait_xcnt 0x0
	s_or_b32 exec_lo, exec_lo, s38
	v_add_nc_u64_e32 v[24:25], s[28:29], v[24:25]
	s_wait_loadcnt 0x0
	ds_store_b64 v23, v[26:27]
	v_add_nc_u32_e32 v23, s14, v23
	s_cmp_lt_i32 s37, 1
	s_cbranch_scc1 .LBB6_21
.LBB6_19:                               ;   Parent Loop BB6_4 Depth=1
                                        ; =>  This Inner Loop Header: Depth=2
	v_mov_b64_e32 v[26:27], 0
	s_add_co_i32 s37, s37, -1
	s_mov_b32 s38, exec_lo
	v_cmpx_ge_i32_e64 s37, v4
	s_cbranch_execz .LBB6_18
; %bb.20:                               ;   in Loop: Header=BB6_19 Depth=2
	global_load_b64 v[26:27], v[24:25], off
	s_branch .LBB6_18
.LBB6_21:                               ;   in Loop: Header=BB6_4 Depth=1
	s_mov_b32 s37, 0
.LBB6_22:                               ;   in Loop: Header=BB6_4 Depth=1
	s_delay_alu instid0(SALU_CYCLE_1)
	s_and_b32 vcc_lo, exec_lo, s37
	s_cbranch_vccz .LBB6_27
; %bb.23:                               ;   in Loop: Header=BB6_4 Depth=1
	v_add_nc_u64_e32 v[24:25], s[34:35], v[16:17]
	v_mov_b32_e32 v23, v28
	s_mov_b32 s34, 0
	s_branch .LBB6_25
.LBB6_24:                               ;   in Loop: Header=BB6_25 Depth=2
	s_wait_xcnt 0x0
	s_or_b32 exec_lo, exec_lo, s35
	v_add_nc_u64_e32 v[24:25], s[22:23], v[24:25]
	s_wait_loadcnt 0x0
	ds_store_b64 v23, v[26:27]
	v_add_nc_u32_e32 v23, s14, v23
	s_add_co_i32 s34, s34, 1
	s_delay_alu instid0(SALU_CYCLE_1)
	s_cmp_eq_u32 s26, s34
	s_cbranch_scc1 .LBB6_27
.LBB6_25:                               ;   Parent Loop BB6_4 Depth=1
                                        ; =>  This Inner Loop Header: Depth=2
	v_mov_b64_e32 v[26:27], 0
	s_mov_b32 s35, exec_lo
	v_cmpx_le_i32_e64 s34, v4
	s_cbranch_execz .LBB6_24
; %bb.26:                               ;   in Loop: Header=BB6_25 Depth=2
	global_load_b64 v[26:27], v[24:25], off
	s_branch .LBB6_24
.LBB6_27:                               ;   in Loop: Header=BB6_4 Depth=1
	s_or_b32 exec_lo, exec_lo, s36
	s_wait_dscnt 0x0
	s_barrier_signal -1
	s_barrier_wait -1
	s_and_saveexec_b32 s34, s2
	s_cbranch_execz .LBB6_33
; %bb.28:                               ;   in Loop: Header=BB6_4 Depth=1
	v_mov_b64_e32 v[26:27], 1.0
	s_and_not1_b32 vcc_lo, exec_lo, s41
	s_cbranch_vccnz .LBB6_32
; %bb.29:                               ;   in Loop: Header=BB6_4 Depth=1
	ds_load_b64 v[24:25], v30
	v_mov_b64_e32 v[26:27], 1.0
	s_mov_b32 s35, exec_lo
	s_wait_dscnt 0x0
	v_cmpx_neq_f64_e32 0, v[24:25]
	s_cbranch_execz .LBB6_31
; %bb.30:                               ;   in Loop: Header=BB6_4 Depth=1
	v_div_scale_f64 v[26:27], null, v[24:25], v[24:25], 1.0
	s_delay_alu instid0(VALU_DEP_1) | instskip(SKIP_1) | instid1(TRANS32_DEP_1)
	v_rcp_f64_e32 v[46:47], v[26:27]
	v_nop
	v_fma_f64 v[48:49], -v[26:27], v[46:47], 1.0
	s_delay_alu instid0(VALU_DEP_1) | instskip(NEXT) | instid1(VALU_DEP_1)
	v_fmac_f64_e32 v[46:47], v[46:47], v[48:49]
	v_fma_f64 v[48:49], -v[26:27], v[46:47], 1.0
	s_delay_alu instid0(VALU_DEP_1) | instskip(SKIP_1) | instid1(VALU_DEP_1)
	v_fmac_f64_e32 v[46:47], v[46:47], v[48:49]
	v_div_scale_f64 v[48:49], vcc_lo, 1.0, v[24:25], 1.0
	v_mul_f64_e32 v[50:51], v[48:49], v[46:47]
	s_delay_alu instid0(VALU_DEP_1) | instskip(NEXT) | instid1(VALU_DEP_1)
	v_fma_f64 v[26:27], -v[26:27], v[50:51], v[48:49]
	v_div_fmas_f64 v[26:27], v[26:27], v[46:47], v[50:51]
	s_delay_alu instid0(VALU_DEP_1)
	v_div_fixup_f64 v[26:27], v[26:27], v[24:25], 1.0
.LBB6_31:                               ;   in Loop: Header=BB6_4 Depth=1
	s_or_b32 exec_lo, exec_lo, s35
.LBB6_32:                               ;   in Loop: Header=BB6_4 Depth=1
	ds_store_b64 v30, v[26:27]
.LBB6_33:                               ;   in Loop: Header=BB6_4 Depth=1
	s_or_b32 exec_lo, exec_lo, s34
	s_wait_dscnt 0x0
	s_barrier_signal -1
	s_barrier_wait -1
	s_and_saveexec_b32 s34, s2
	s_cbranch_execz .LBB6_45
; %bb.34:                               ;   in Loop: Header=BB6_4 Depth=1
	v_dual_mov_b32 v23, v35 :: v_dual_mov_b32 v26, v34
	s_mov_b32 s35, 0
	s_branch .LBB6_36
.LBB6_35:                               ;   in Loop: Header=BB6_36 Depth=2
	v_dual_add_nc_u32 v26, s27, v26 :: v_dual_add_nc_u32 v23, s14, v23
	s_cmp_eq_u32 s35, s26
	s_cbranch_scc1 .LBB6_45
.LBB6_36:                               ;   Parent Loop BB6_4 Depth=1
                                        ; =>  This Loop Header: Depth=2
                                        ;       Child Loop BB6_41 Depth 3
	v_mov_b64_e32 v[24:25], 0
	s_mul_i32 s36, s35, s26
	s_mov_b32 s37, exec_lo
	v_cmpx_lt_i32_e64 s35, v4
	s_cbranch_execz .LBB6_38
; %bb.37:                               ;   in Loop: Header=BB6_36 Depth=2
	s_lshl_b32 s38, s36, 3
	s_lshl_b32 s39, s35, 3
	v_add_nc_u32_e32 v24, s38, v28
	v_add3_u32 v27, s38, s39, v1
	ds_load_b64 v[24:25], v24
	ds_load_b64 v[46:47], v27
	s_wait_dscnt 0x0
	v_fma_f64 v[24:25], v[24:25], v[46:47], 0
.LBB6_38:                               ;   in Loop: Header=BB6_36 Depth=2
	s_or_b32 exec_lo, exec_lo, s37
	s_add_co_i32 s35, s35, 1
	s_delay_alu instid0(SALU_CYCLE_1)
	s_cmp_ge_u32 s35, s26
	s_cbranch_scc1 .LBB6_35
; %bb.39:                               ;   in Loop: Header=BB6_36 Depth=2
	v_lshl_add_u32 v27, s36, 3, v28
	v_dual_mov_b32 v45, v23 :: v_dual_mov_b32 v46, v26
	s_mov_b32 s36, s35
	s_branch .LBB6_41
.LBB6_40:                               ;   in Loop: Header=BB6_41 Depth=3
	s_or_b32 exec_lo, exec_lo, s37
	v_dual_add_nc_u32 v46, 8, v46 :: v_dual_add_nc_u32 v45, s14, v45
	s_add_co_i32 s36, s36, 1
	s_delay_alu instid0(SALU_CYCLE_1)
	s_cmp_eq_u32 s26, s36
	s_cbranch_scc1 .LBB6_35
.LBB6_41:                               ;   Parent Loop BB6_4 Depth=1
                                        ;     Parent Loop BB6_36 Depth=2
                                        ; =>    This Inner Loop Header: Depth=3
	s_mov_b32 s37, exec_lo
	v_cmpx_eq_u32_e64 s36, v4
	s_cbranch_execz .LBB6_43
; %bb.42:                               ;   in Loop: Header=BB6_41 Depth=3
	s_delay_alu instid0(VALU_DEP_3)
	v_add_f64_e64 v[48:49], -v[24:25], 0
	ds_load_b64 v[50:51], v30
	s_wait_dscnt 0x0
	v_mul_f64_e32 v[48:49], v[48:49], v[50:51]
	ds_store_b64 v27, v[48:49]
.LBB6_43:                               ;   in Loop: Header=BB6_41 Depth=3
	s_or_b32 exec_lo, exec_lo, s37
	s_delay_alu instid0(SALU_CYCLE_1)
	s_mov_b32 s37, exec_lo
	v_cmpx_lt_i32_e64 s36, v4
	s_cbranch_execz .LBB6_40
; %bb.44:                               ;   in Loop: Header=BB6_41 Depth=3
	ds_load_b64 v[48:49], v45
	ds_load_b64 v[50:51], v46
	s_wait_dscnt 0x0
	v_fmac_f64_e32 v[24:25], v[48:49], v[50:51]
	s_branch .LBB6_40
.LBB6_45:                               ;   in Loop: Header=BB6_4 Depth=1
	s_or_b32 exec_lo, exec_lo, s34
	s_delay_alu instid0(SALU_CYCLE_1)
	s_and_b32 vcc_lo, exec_lo, s40
	s_mov_b32 s34, -1
	s_wait_dscnt 0x0
	s_barrier_signal -1
	s_barrier_wait -1
	s_cbranch_vccz .LBB6_51
; %bb.46:                               ;   in Loop: Header=BB6_4 Depth=1
	s_and_saveexec_b32 s34, s1
	s_cbranch_execz .LBB6_50
; %bb.47:                               ;   in Loop: Header=BB6_4 Depth=1
	v_mov_b64_e32 v[24:25], 0
	v_dual_mov_b32 v23, v29 :: v_dual_mov_b32 v26, v36
	s_mov_b32 s36, -1
	s_mov_b32 s35, 0
.LBB6_48:                               ;   Parent Loop BB6_4 Depth=1
                                        ; =>  This Inner Loop Header: Depth=2
	ds_load_b64 v[46:47], v23
	ds_load_b64 v[48:49], v26
	s_add_co_i32 s36, s36, 1
	v_add_nc_u32_e32 v26, -8, v26
	v_cmp_ge_u32_e32 vcc_lo, s36, v6
	v_add_nc_u32_e32 v23, 0x80, v23
	s_or_b32 s35, vcc_lo, s35
	s_wait_dscnt 0x0
	v_fmac_f64_e32 v[24:25], v[46:47], v[48:49]
	s_and_not1_b32 exec_lo, exec_lo, s35
	s_cbranch_execnz .LBB6_48
; %bb.49:                               ;   in Loop: Header=BB6_4 Depth=1
	s_or_b32 exec_lo, exec_lo, s35
	v_add_nc_u32_e32 v23, v32, v31
	ds_store_b64 v23, v[24:25]
.LBB6_50:                               ;   in Loop: Header=BB6_4 Depth=1
	s_or_b32 exec_lo, exec_lo, s34
	s_mov_b32 s34, 0
.LBB6_51:                               ;   in Loop: Header=BB6_4 Depth=1
	s_delay_alu instid0(SALU_CYCLE_1)
	s_and_not1_b32 vcc_lo, exec_lo, s34
	s_cbranch_vccnz .LBB6_59
; %bb.52:                               ;   in Loop: Header=BB6_4 Depth=1
	s_and_saveexec_b32 s34, s1
	s_cbranch_execz .LBB6_58
; %bb.53:                               ;   in Loop: Header=BB6_4 Depth=1
	v_mov_b64_e32 v[24:25], 0
	s_and_saveexec_b32 s35, s6
	s_cbranch_execz .LBB6_57
; %bb.54:                               ;   in Loop: Header=BB6_4 Depth=1
	v_mov_b64_e32 v[24:25], 0
	v_dual_mov_b32 v23, v39 :: v_dual_mov_b32 v26, v38
	v_mov_b32_e32 v27, v37
	s_mov_b32 s36, 0
.LBB6_55:                               ;   Parent Loop BB6_4 Depth=1
                                        ; =>  This Inner Loop Header: Depth=2
	ds_load_b64 v[46:47], v23
	ds_load_b64 v[48:49], v26
	v_dual_add_nc_u32 v27, 1, v27 :: v_dual_add_nc_u32 v26, 8, v26
	v_add_nc_u32_e32 v23, 0x80, v23
	s_delay_alu instid0(VALU_DEP_2)
	v_cmp_lt_u32_e32 vcc_lo, 14, v27
	s_or_b32 s36, vcc_lo, s36
	s_wait_dscnt 0x0
	v_fmac_f64_e32 v[24:25], v[46:47], v[48:49]
	s_and_not1_b32 exec_lo, exec_lo, s36
	s_cbranch_execnz .LBB6_55
; %bb.56:                               ;   in Loop: Header=BB6_4 Depth=1
	s_or_b32 exec_lo, exec_lo, s36
.LBB6_57:                               ;   in Loop: Header=BB6_4 Depth=1
	s_delay_alu instid0(SALU_CYCLE_1)
	s_or_b32 exec_lo, exec_lo, s35
	v_add_nc_u32_e32 v23, v32, v31
	ds_store_b64 v23, v[24:25]
.LBB6_58:                               ;   in Loop: Header=BB6_4 Depth=1
	s_or_b32 exec_lo, exec_lo, s34
.LBB6_59:                               ;   in Loop: Header=BB6_4 Depth=1
	s_mul_u64 s[34:35], s[16:17], s[24:25]
	s_and_b32 vcc_lo, exec_lo, s40
	s_lshl_b64 s[34:35], s[34:35], 3
	s_mov_b32 s36, -1
	s_add_nc_u64 s[34:35], s[10:11], s[34:35]
	s_wait_dscnt 0x0
	s_barrier_signal -1
	s_barrier_wait -1
	s_cbranch_vccnz .LBB6_62
; %bb.60:                               ;   in Loop: Header=BB6_4 Depth=1
	s_and_not1_b32 vcc_lo, exec_lo, s36
	s_cbranch_vccz .LBB6_67
.LBB6_61:                               ;   in Loop: Header=BB6_4 Depth=1
	s_and_saveexec_b32 s36, s2
	s_cbranch_execz .LBB6_2
	s_branch .LBB6_72
.LBB6_62:                               ;   in Loop: Header=BB6_4 Depth=1
	s_and_saveexec_b32 s36, s1
	s_cbranch_execz .LBB6_66
; %bb.63:                               ;   in Loop: Header=BB6_4 Depth=1
	v_mov_b64_e32 v[24:25], 0
	v_dual_mov_b32 v23, v42 :: v_dual_mov_b32 v26, v41
	v_mov_b32_e32 v27, v40
	s_mov_b32 s37, 0
.LBB6_64:                               ;   Parent Loop BB6_4 Depth=1
                                        ; =>  This Inner Loop Header: Depth=2
	ds_load_b64 v[46:47], v23
	ds_load_b64 v[48:49], v26
	v_dual_add_nc_u32 v26, 8, v26 :: v_dual_add_nc_u32 v23, s15, v23
	v_add_nc_u32_e32 v27, 1, v27
	s_delay_alu instid0(VALU_DEP_1)
	v_cmp_lt_u32_e32 vcc_lo, 14, v27
	s_or_b32 s37, vcc_lo, s37
	s_wait_dscnt 0x0
	v_fma_f64 v[24:25], -v[46:47], v[48:49], v[24:25]
	s_and_not1_b32 exec_lo, exec_lo, s37
	s_cbranch_execnz .LBB6_64
; %bb.65:                               ;   in Loop: Header=BB6_4 Depth=1
	s_or_b32 exec_lo, exec_lo, s37
	v_mov_b32_e32 v23, v3
	s_lshl_b64 s[38:39], s[18:19], 3
	s_delay_alu instid0(SALU_CYCLE_1)
	s_add_nc_u64 s[38:39], s[34:35], s[38:39]
	s_delay_alu instid0(VALU_DEP_1) | instid1(SALU_CYCLE_1)
	v_add_nc_u64_e32 v[26:27], s[38:39], v[22:23]
	s_delay_alu instid0(VALU_DEP_1)
	v_lshl_add_u64 v[26:27], v[8:9], 3, v[26:27]
	global_store_b64 v[26:27], v[24:25], off
.LBB6_66:                               ;   in Loop: Header=BB6_4 Depth=1
	s_wait_xcnt 0x0
	s_or_b32 exec_lo, exec_lo, s36
	s_cbranch_execnz .LBB6_61
.LBB6_67:                               ;   in Loop: Header=BB6_4 Depth=1
	s_and_saveexec_b32 s36, s1
	s_cbranch_execz .LBB6_71
; %bb.68:                               ;   in Loop: Header=BB6_4 Depth=1
	v_mov_b64_e32 v[24:25], 0
	v_dual_mov_b32 v23, v43 :: v_dual_mov_b32 v26, v5
	s_mov_b32 s38, -1
	s_mov_b32 s37, 0
.LBB6_69:                               ;   Parent Loop BB6_4 Depth=1
                                        ; =>  This Inner Loop Header: Depth=2
	ds_load_b64 v[46:47], v23
	ds_load_b64 v[48:49], v26
	s_add_co_i32 s38, s38, 1
	v_add_nc_u32_e32 v23, s14, v23
	v_cmp_ge_u32_e32 vcc_lo, s38, v0
	v_add_nc_u32_e32 v26, 8, v26
	s_or_b32 s37, vcc_lo, s37
	s_wait_dscnt 0x0
	v_fma_f64 v[24:25], -v[46:47], v[48:49], v[24:25]
	s_and_not1_b32 exec_lo, exec_lo, s37
	s_cbranch_execnz .LBB6_69
; %bb.70:                               ;   in Loop: Header=BB6_4 Depth=1
	s_or_b32 exec_lo, exec_lo, s37
	v_lshl_add_u64 v[26:27], v[8:9], 3, s[34:35]
	s_delay_alu instid0(VALU_DEP_1)
	v_add_nc_u64_e32 v[26:27], v[26:27], v[2:3]
	global_store_b64 v[26:27], v[24:25], off
.LBB6_71:                               ;   in Loop: Header=BB6_4 Depth=1
	s_wait_xcnt 0x0
	s_or_b32 exec_lo, exec_lo, s36
	s_and_saveexec_b32 s36, s2
	s_cbranch_execz .LBB6_2
.LBB6_72:                               ;   in Loop: Header=BB6_4 Depth=1
	s_mul_u64 s[34:35], s[20:21], s[24:25]
	s_and_b32 vcc_lo, exec_lo, s40
	s_mov_b32 s37, -1
	s_cbranch_vccz .LBB6_77
; %bb.73:                               ;   in Loop: Header=BB6_4 Depth=1
	s_and_saveexec_b32 s37, s4
	s_cbranch_execz .LBB6_76
; %bb.74:                               ;   in Loop: Header=BB6_4 Depth=1
	v_add_nc_u64_e32 v[24:25], s[34:35], v[18:19]
	v_mov_b32_e32 v23, v33
	s_mov_b32 s38, 0
	s_mov_b32 s39, s26
.LBB6_75:                               ;   Parent Loop BB6_4 Depth=1
                                        ; =>  This Inner Loop Header: Depth=2
	ds_load_b64 v[26:27], v23
	s_add_co_i32 s39, s39, -1
	v_add_nc_u32_e32 v23, s14, v23
	v_cmp_le_i32_e32 vcc_lo, s39, v4
	s_or_b32 s38, vcc_lo, s38
	s_wait_dscnt 0x0
	global_store_b64 v[24:25], v[26:27], off
	s_wait_xcnt 0x0
	v_add_nc_u64_e32 v[24:25], s[30:31], v[24:25]
	s_and_not1_b32 exec_lo, exec_lo, s38
	s_cbranch_execnz .LBB6_75
.LBB6_76:                               ;   in Loop: Header=BB6_4 Depth=1
	s_or_b32 exec_lo, exec_lo, s37
	s_mov_b32 s37, 0
.LBB6_77:                               ;   in Loop: Header=BB6_4 Depth=1
	s_delay_alu instid0(SALU_CYCLE_1)
	s_and_not1_b32 vcc_lo, exec_lo, s37
	s_cbranch_vccnz .LBB6_2
; %bb.78:                               ;   in Loop: Header=BB6_4 Depth=1
	s_and_b32 exec_lo, exec_lo, s5
	s_cbranch_execz .LBB6_2
; %bb.79:                               ;   in Loop: Header=BB6_4 Depth=1
	v_add_nc_u64_e32 v[24:25], s[34:35], v[20:21]
	v_dual_mov_b32 v23, v28 :: v_dual_mov_b32 v26, v44
	s_mov_b32 s34, 0
.LBB6_80:                               ;   Parent Loop BB6_4 Depth=1
                                        ; =>  This Inner Loop Header: Depth=2
	ds_load_b64 v[46:47], v23
	v_dual_add_nc_u32 v26, -1, v26 :: v_dual_add_nc_u32 v23, s14, v23
	s_delay_alu instid0(VALU_DEP_1)
	v_cmp_eq_u32_e32 vcc_lo, 0, v26
	s_or_b32 s34, vcc_lo, s34
	s_wait_dscnt 0x0
	global_store_b64 v[24:25], v[46:47], off
	s_wait_xcnt 0x0
	v_add_nc_u64_e32 v[24:25], s[12:13], v[24:25]
	s_and_not1_b32 exec_lo, exec_lo, s34
	s_cbranch_execnz .LBB6_80
	s_branch .LBB6_2
.LBB6_81:
	s_endpgm
	.section	.rodata,"a",@progbits
	.p2align	6, 0x0
	.amdhsa_kernel _ZL29rocblas_trtri_diagonal_kernelILi16EdPKdPdEv13rocblas_fill_17rocblas_diagonal_iT1_lillT2_lilli
		.amdhsa_group_segment_fixed_size 8192
		.amdhsa_private_segment_fixed_size 0
		.amdhsa_kernarg_size 100
		.amdhsa_user_sgpr_count 2
		.amdhsa_user_sgpr_dispatch_ptr 0
		.amdhsa_user_sgpr_queue_ptr 0
		.amdhsa_user_sgpr_kernarg_segment_ptr 1
		.amdhsa_user_sgpr_dispatch_id 0
		.amdhsa_user_sgpr_kernarg_preload_length 0
		.amdhsa_user_sgpr_kernarg_preload_offset 0
		.amdhsa_user_sgpr_private_segment_size 0
		.amdhsa_wavefront_size32 1
		.amdhsa_uses_dynamic_stack 0
		.amdhsa_enable_private_segment 0
		.amdhsa_system_sgpr_workgroup_id_x 1
		.amdhsa_system_sgpr_workgroup_id_y 0
		.amdhsa_system_sgpr_workgroup_id_z 1
		.amdhsa_system_sgpr_workgroup_info 0
		.amdhsa_system_vgpr_workitem_id 0
		.amdhsa_next_free_vgpr 52
		.amdhsa_next_free_sgpr 54
		.amdhsa_named_barrier_count 0
		.amdhsa_reserve_vcc 1
		.amdhsa_float_round_mode_32 0
		.amdhsa_float_round_mode_16_64 0
		.amdhsa_float_denorm_mode_32 3
		.amdhsa_float_denorm_mode_16_64 3
		.amdhsa_fp16_overflow 0
		.amdhsa_memory_ordered 1
		.amdhsa_forward_progress 1
		.amdhsa_inst_pref_size 24
		.amdhsa_round_robin_scheduling 0
		.amdhsa_exception_fp_ieee_invalid_op 0
		.amdhsa_exception_fp_denorm_src 0
		.amdhsa_exception_fp_ieee_div_zero 0
		.amdhsa_exception_fp_ieee_overflow 0
		.amdhsa_exception_fp_ieee_underflow 0
		.amdhsa_exception_fp_ieee_inexact 0
		.amdhsa_exception_int_div_zero 0
	.end_amdhsa_kernel
	.section	.text._ZL29rocblas_trtri_diagonal_kernelILi16EdPKdPdEv13rocblas_fill_17rocblas_diagonal_iT1_lillT2_lilli,"axG",@progbits,_ZL29rocblas_trtri_diagonal_kernelILi16EdPKdPdEv13rocblas_fill_17rocblas_diagonal_iT1_lillT2_lilli,comdat
.Lfunc_end6:
	.size	_ZL29rocblas_trtri_diagonal_kernelILi16EdPKdPdEv13rocblas_fill_17rocblas_diagonal_iT1_lillT2_lilli, .Lfunc_end6-_ZL29rocblas_trtri_diagonal_kernelILi16EdPKdPdEv13rocblas_fill_17rocblas_diagonal_iT1_lillT2_lilli
                                        ; -- End function
	.set _ZL29rocblas_trtri_diagonal_kernelILi16EdPKdPdEv13rocblas_fill_17rocblas_diagonal_iT1_lillT2_lilli.num_vgpr, 52
	.set _ZL29rocblas_trtri_diagonal_kernelILi16EdPKdPdEv13rocblas_fill_17rocblas_diagonal_iT1_lillT2_lilli.num_agpr, 0
	.set _ZL29rocblas_trtri_diagonal_kernelILi16EdPKdPdEv13rocblas_fill_17rocblas_diagonal_iT1_lillT2_lilli.numbered_sgpr, 54
	.set _ZL29rocblas_trtri_diagonal_kernelILi16EdPKdPdEv13rocblas_fill_17rocblas_diagonal_iT1_lillT2_lilli.num_named_barrier, 0
	.set _ZL29rocblas_trtri_diagonal_kernelILi16EdPKdPdEv13rocblas_fill_17rocblas_diagonal_iT1_lillT2_lilli.private_seg_size, 0
	.set _ZL29rocblas_trtri_diagonal_kernelILi16EdPKdPdEv13rocblas_fill_17rocblas_diagonal_iT1_lillT2_lilli.uses_vcc, 1
	.set _ZL29rocblas_trtri_diagonal_kernelILi16EdPKdPdEv13rocblas_fill_17rocblas_diagonal_iT1_lillT2_lilli.uses_flat_scratch, 0
	.set _ZL29rocblas_trtri_diagonal_kernelILi16EdPKdPdEv13rocblas_fill_17rocblas_diagonal_iT1_lillT2_lilli.has_dyn_sized_stack, 0
	.set _ZL29rocblas_trtri_diagonal_kernelILi16EdPKdPdEv13rocblas_fill_17rocblas_diagonal_iT1_lillT2_lilli.has_recursion, 0
	.set _ZL29rocblas_trtri_diagonal_kernelILi16EdPKdPdEv13rocblas_fill_17rocblas_diagonal_iT1_lillT2_lilli.has_indirect_call, 0
	.section	.AMDGPU.csdata,"",@progbits
; Kernel info:
; codeLenInByte = 2948
; TotalNumSgprs: 56
; NumVgprs: 52
; ScratchSize: 0
; MemoryBound: 0
; FloatMode: 240
; IeeeMode: 1
; LDSByteSize: 8192 bytes/workgroup (compile time only)
; SGPRBlocks: 0
; VGPRBlocks: 3
; NumSGPRsForWavesPerEU: 56
; NumVGPRsForWavesPerEU: 52
; NamedBarCnt: 0
; Occupancy: 16
; WaveLimiterHint : 0
; COMPUTE_PGM_RSRC2:SCRATCH_EN: 0
; COMPUTE_PGM_RSRC2:USER_SGPR: 2
; COMPUTE_PGM_RSRC2:TRAP_HANDLER: 0
; COMPUTE_PGM_RSRC2:TGID_X_EN: 1
; COMPUTE_PGM_RSRC2:TGID_Y_EN: 0
; COMPUTE_PGM_RSRC2:TGID_Z_EN: 1
; COMPUTE_PGM_RSRC2:TIDIG_COMP_CNT: 0
	.section	.text._ZL30rocblas_trtri_remainder_kernelILi16EdPKdPdEv13rocblas_fill_17rocblas_diagonal_iT1_lillT2_lilli,"axG",@progbits,_ZL30rocblas_trtri_remainder_kernelILi16EdPKdPdEv13rocblas_fill_17rocblas_diagonal_iT1_lillT2_lilli,comdat
	.globl	_ZL30rocblas_trtri_remainder_kernelILi16EdPKdPdEv13rocblas_fill_17rocblas_diagonal_iT1_lillT2_lilli ; -- Begin function _ZL30rocblas_trtri_remainder_kernelILi16EdPKdPdEv13rocblas_fill_17rocblas_diagonal_iT1_lillT2_lilli
	.p2align	8
	.type	_ZL30rocblas_trtri_remainder_kernelILi16EdPKdPdEv13rocblas_fill_17rocblas_diagonal_iT1_lillT2_lilli,@function
_ZL30rocblas_trtri_remainder_kernelILi16EdPKdPdEv13rocblas_fill_17rocblas_diagonal_iT1_lillT2_lilli: ; @_ZL30rocblas_trtri_remainder_kernelILi16EdPKdPdEv13rocblas_fill_17rocblas_diagonal_iT1_lillT2_lilli
; %bb.0:
	s_load_b32 s23, s[0:1], 0x60
	s_bfe_u32 s2, ttmp6, 0x40014
	s_lshr_b32 s3, ttmp7, 16
	s_add_co_i32 s2, s2, 1
	s_bfe_u32 s4, ttmp6, 0x40008
	s_mul_i32 s2, s3, s2
	s_getreg_b32 s26, hwreg(HW_REG_IB_STS2, 6, 4)
	s_add_co_i32 s4, s4, s2
	s_cmp_eq_u32 s26, 0
	s_cselect_b32 s2, s3, s4
	s_mov_b32 s3, 0
	s_wait_kmcnt 0x0
	s_cmp_ge_u32 s2, s23
	s_cbranch_scc1 .LBB7_38
; %bb.1:
	s_clause 0x5
	s_load_b32 s28, s[0:1], 0x20
	s_load_b32 s24, s[0:1], 0x48
	s_load_b96 s[20:22], s[0:1], 0x0
	s_load_b256 s[4:11], s[0:1], 0x28
	s_load_b128 s[16:19], s[0:1], 0x10
	s_load_b128 s[12:15], s[0:1], 0x50
	s_wait_xcnt 0x0
	s_bfe_u32 s1, ttmp6, 0x4000c
	s_and_b32 s0, ttmp6, 15
	s_add_co_i32 s1, s1, 1
	s_mov_b32 s31, s3
	s_mul_i32 s1, ttmp9, s1
	s_mov_b32 s35, s3
	s_add_co_i32 s1, s0, s1
	v_mov_b32_e32 v3, 0
	s_wait_kmcnt 0x0
	s_ashr_i32 s29, s28, 31
	s_ashr_i32 s25, s24, 31
	s_cmp_eq_u32 s26, 0
	v_mul_lo_u32 v4, v0, s22
	s_cselect_b32 s30, ttmp9, s1
	s_cmp_gt_i32 s22, 0
	s_mul_u64 s[6:7], s[6:7], s[30:31]
	s_cselect_b32 s1, -1, 0
	s_cmp_lg_u32 s20, 0x7a
	s_mul_u64 s[14:15], s[14:15], s[30:31]
	s_cselect_b32 s20, -1, 0
	s_add_co_i32 s34, s22, -1
	s_delay_alu instid0(SALU_CYCLE_1)
	v_dual_lshlrev_b32 v2, 3, v0 :: v_dual_sub_nc_u32 v1, s34, v0
	s_cmp_lg_u32 s21, 0x84
	s_mul_u64 s[26:27], s[28:29], s[34:35]
	s_cselect_b32 s21, -1, 0
	s_lshl_b64 s[6:7], s[6:7], 3
	s_lshl_b64 s[18:19], s[18:19], 3
	;; [unrolled: 1-line block ×3, first 2 shown]
	s_add_nc_u64 s[36:37], s[6:7], s[18:19]
	v_lshlrev_b32_e32 v1, 3, v1
	s_add_nc_u64 s[6:7], s[36:37], s[26:27]
	s_lshl_b64 s[14:15], s[14:15], 3
	s_add_nc_u64 s[6:7], s[16:17], s[6:7]
	s_add_nc_u64 s[16:17], s[16:17], s[36:37]
	s_lshl_b64 s[10:11], s[10:11], 3
	v_add_nc_u64_e32 v[6:7], s[16:17], v[2:3]
	s_mul_u64 s[16:17], s[24:25], s[34:35]
	v_add_lshl_u32 v16, v4, v0, 3
	v_add_nc_u64_e32 v[4:5], s[6:7], v[2:3]
	s_lshl_b64 s[6:7], s[28:29], 3
	s_lshl_b64 s[28:29], s[16:17], 3
	s_add_nc_u64 s[10:11], s[14:15], s[10:11]
	s_lshl_b32 s26, s22, 3
	s_add_nc_u64 s[14:15], s[10:11], s[28:29]
	v_cmp_gt_u32_e64 s0, s22, v0
	s_add_nc_u64 s[14:15], s[8:9], s[14:15]
	s_add_nc_u64 s[8:9], s[8:9], s[10:11]
	v_add_nc_u64_e32 v[8:9], s[14:15], v[2:3]
	v_add_nc_u64_e32 v[10:11], s[8:9], v[2:3]
	v_dual_add_nc_u32 v17, 1, v0 :: v_dual_add_nc_u32 v18, s26, v2
	s_lshl_b64 s[8:9], s[24:25], 3
	s_lshl_b64 s[4:5], s[4:5], 3
	s_sub_nc_u64 s[18:19], 0, s[6:7]
	s_add_co_i32 s16, s26, 8
	s_lshl_b64 s[10:11], s[12:13], 3
	s_sub_nc_u64 s[12:13], 0, s[8:9]
	s_branch .LBB7_4
.LBB7_2:                                ;   in Loop: Header=BB7_4 Depth=1
	s_or_b32 exec_lo, exec_lo, s17
.LBB7_3:                                ;   in Loop: Header=BB7_4 Depth=1
	s_add_co_i32 s2, s2, 0x10000
	s_delay_alu instid0(SALU_CYCLE_1)
	s_cmp_lt_u32 s2, s23
	s_cbranch_scc0 .LBB7_38
.LBB7_4:                                ; =>This Loop Header: Depth=1
                                        ;     Child Loop BB7_8 Depth 2
                                        ;     Child Loop BB7_12 Depth 2
	;; [unrolled: 1-line block ×3, first 2 shown]
                                        ;       Child Loop BB7_26 Depth 3
                                        ;     Child Loop BB7_33 Depth 2
                                        ;     Child Loop BB7_37 Depth 2
	s_and_not1_b32 vcc_lo, exec_lo, s1
	s_cbranch_vccnz .LBB7_3
; %bb.5:                                ;   in Loop: Header=BB7_4 Depth=1
	s_and_saveexec_b32 s17, s0
	s_cbranch_execz .LBB7_13
; %bb.6:                                ;   in Loop: Header=BB7_4 Depth=1
	s_mul_u64 s[14:15], s[4:5], s[2:3]
	s_and_not1_b32 vcc_lo, exec_lo, s20
	s_mov_b32 s24, -1
	s_cbranch_vccnz .LBB7_10
; %bb.7:                                ;   in Loop: Header=BB7_4 Depth=1
	v_add_nc_u64_e32 v[12:13], s[14:15], v[4:5]
	v_mov_b32_e32 v3, v1
	s_mov_b32 s24, 0
	s_mov_b32 s25, s22
.LBB7_8:                                ;   Parent Loop BB7_4 Depth=1
                                        ; =>  This Inner Loop Header: Depth=2
	global_load_b64 v[14:15], v[12:13], off
	s_add_co_i32 s25, s25, -1
	s_wait_xcnt 0x0
	v_add_nc_u64_e32 v[12:13], s[18:19], v[12:13]
	v_cmp_le_u32_e32 vcc_lo, s25, v0
	s_or_b32 s24, vcc_lo, s24
	s_wait_loadcnt 0x0
	ds_store_b64 v3, v[14:15]
	v_add_nc_u32_e32 v3, s26, v3
	s_and_not1_b32 exec_lo, exec_lo, s24
	s_cbranch_execnz .LBB7_8
; %bb.9:                                ;   in Loop: Header=BB7_4 Depth=1
	s_or_b32 exec_lo, exec_lo, s24
	s_mov_b32 s24, 0
.LBB7_10:                               ;   in Loop: Header=BB7_4 Depth=1
	s_delay_alu instid0(SALU_CYCLE_1)
	s_and_b32 vcc_lo, exec_lo, s24
	s_cbranch_vccz .LBB7_13
; %bb.11:                               ;   in Loop: Header=BB7_4 Depth=1
	v_add_nc_u64_e32 v[12:13], s[14:15], v[6:7]
	v_dual_mov_b32 v3, v2 :: v_dual_mov_b32 v14, v17
	s_mov_b32 s14, 0
.LBB7_12:                               ;   Parent Loop BB7_4 Depth=1
                                        ; =>  This Inner Loop Header: Depth=2
	global_load_b64 v[20:21], v[12:13], off
	v_add_nc_u32_e32 v14, -1, v14
	s_wait_xcnt 0x0
	v_add_nc_u64_e32 v[12:13], s[6:7], v[12:13]
	s_wait_loadcnt 0x0
	ds_store_b64 v3, v[20:21]
	v_add_nc_u32_e32 v3, s26, v3
	v_cmp_eq_u32_e32 vcc_lo, 0, v14
	s_or_b32 s14, vcc_lo, s14
	s_delay_alu instid0(SALU_CYCLE_1)
	s_and_not1_b32 exec_lo, exec_lo, s14
	s_cbranch_execnz .LBB7_12
.LBB7_13:                               ;   in Loop: Header=BB7_4 Depth=1
	s_or_b32 exec_lo, exec_lo, s17
	s_wait_dscnt 0x0
	s_barrier_signal -1
	s_barrier_wait -1
	s_and_saveexec_b32 s14, s0
	s_cbranch_execz .LBB7_19
; %bb.14:                               ;   in Loop: Header=BB7_4 Depth=1
	v_mov_b64_e32 v[14:15], 1.0
	s_and_not1_b32 vcc_lo, exec_lo, s21
	s_cbranch_vccnz .LBB7_18
; %bb.15:                               ;   in Loop: Header=BB7_4 Depth=1
	ds_load_b64 v[12:13], v16
	v_mov_b64_e32 v[14:15], 1.0
	s_mov_b32 s15, exec_lo
	s_wait_dscnt 0x0
	v_cmpx_neq_f64_e32 0, v[12:13]
	s_cbranch_execz .LBB7_17
; %bb.16:                               ;   in Loop: Header=BB7_4 Depth=1
	v_div_scale_f64 v[14:15], null, v[12:13], v[12:13], 1.0
	s_delay_alu instid0(VALU_DEP_1) | instskip(SKIP_1) | instid1(TRANS32_DEP_1)
	v_rcp_f64_e32 v[20:21], v[14:15]
	v_nop
	v_fma_f64 v[22:23], -v[14:15], v[20:21], 1.0
	s_delay_alu instid0(VALU_DEP_1) | instskip(NEXT) | instid1(VALU_DEP_1)
	v_fmac_f64_e32 v[20:21], v[20:21], v[22:23]
	v_fma_f64 v[22:23], -v[14:15], v[20:21], 1.0
	s_delay_alu instid0(VALU_DEP_1) | instskip(SKIP_1) | instid1(VALU_DEP_1)
	v_fmac_f64_e32 v[20:21], v[20:21], v[22:23]
	v_div_scale_f64 v[22:23], vcc_lo, 1.0, v[12:13], 1.0
	v_mul_f64_e32 v[24:25], v[22:23], v[20:21]
	s_delay_alu instid0(VALU_DEP_1) | instskip(NEXT) | instid1(VALU_DEP_1)
	v_fma_f64 v[14:15], -v[14:15], v[24:25], v[22:23]
	v_div_fmas_f64 v[14:15], v[14:15], v[20:21], v[24:25]
	s_delay_alu instid0(VALU_DEP_1)
	v_div_fixup_f64 v[14:15], v[14:15], v[12:13], 1.0
.LBB7_17:                               ;   in Loop: Header=BB7_4 Depth=1
	s_or_b32 exec_lo, exec_lo, s15
.LBB7_18:                               ;   in Loop: Header=BB7_4 Depth=1
	ds_store_b64 v16, v[14:15]
.LBB7_19:                               ;   in Loop: Header=BB7_4 Depth=1
	s_or_b32 exec_lo, exec_lo, s14
	v_mov_b32_e32 v3, v18
	s_mov_b32 s14, 0
	s_mov_b32 s15, 8
	s_wait_dscnt 0x0
	s_barrier_signal -1
	s_barrier_wait -1
	s_branch .LBB7_21
.LBB7_20:                               ;   in Loop: Header=BB7_21 Depth=2
	v_add_nc_u32_e32 v3, s26, v3
	s_add_co_i32 s15, s15, s16
	s_cmp_eq_u32 s14, s22
	s_barrier_signal -1
	s_barrier_wait -1
	s_cbranch_scc1 .LBB7_30
.LBB7_21:                               ;   Parent Loop BB7_4 Depth=1
                                        ; =>  This Loop Header: Depth=2
                                        ;       Child Loop BB7_26 Depth 3
	v_mov_b64_e32 v[12:13], 0
	s_mul_i32 s17, s14, s22
	s_mov_b32 s24, exec_lo
	v_cmpx_lt_u32_e64 s14, v0
	s_cbranch_execz .LBB7_23
; %bb.22:                               ;   in Loop: Header=BB7_21 Depth=2
	s_lshl_b32 s25, s14, 3
	s_lshl_b32 s27, s17, 3
	s_delay_alu instid0(SALU_CYCLE_1) | instskip(NEXT) | instid1(SALU_CYCLE_1)
	s_add_co_i32 s25, s25, s27
	v_dual_add_nc_u32 v12, s27, v2 :: v_dual_mov_b32 v14, s25
	ds_load_b64 v[12:13], v12
	ds_load_b64 v[14:15], v14
	s_wait_dscnt 0x0
	v_fma_f64 v[12:13], v[12:13], v[14:15], 0
.LBB7_23:                               ;   in Loop: Header=BB7_21 Depth=2
	s_or_b32 exec_lo, exec_lo, s24
	s_add_co_i32 s14, s14, 1
	s_delay_alu instid0(SALU_CYCLE_1)
	s_cmp_ge_i32 s14, s22
	s_barrier_signal -1
	s_barrier_wait -1
	s_cbranch_scc1 .LBB7_20
; %bb.24:                               ;   in Loop: Header=BB7_21 Depth=2
	v_lshl_add_u32 v14, s17, 3, v2
	v_mov_b32_e32 v15, v3
	s_mov_b32 s17, s15
	s_mov_b32 s24, s14
	s_branch .LBB7_26
.LBB7_25:                               ;   in Loop: Header=BB7_26 Depth=3
	s_or_b32 exec_lo, exec_lo, s25
	v_add_nc_u32_e32 v15, s26, v15
	s_add_co_i32 s24, s24, 1
	s_add_co_i32 s17, s17, 8
	s_cmp_eq_u32 s22, s24
	s_barrier_signal -1
	s_barrier_wait -1
	s_cbranch_scc1 .LBB7_20
.LBB7_26:                               ;   Parent Loop BB7_4 Depth=1
                                        ;     Parent Loop BB7_21 Depth=2
                                        ; =>    This Inner Loop Header: Depth=3
	s_mov_b32 s25, exec_lo
	v_cmpx_eq_u32_e64 s24, v0
	s_cbranch_execz .LBB7_28
; %bb.27:                               ;   in Loop: Header=BB7_26 Depth=3
	s_delay_alu instid0(VALU_DEP_3)
	v_add_f64_e64 v[20:21], -v[12:13], 0
	ds_load_b64 v[22:23], v16
	s_wait_dscnt 0x0
	v_mul_f64_e32 v[20:21], v[20:21], v[22:23]
	ds_store_b64 v14, v[20:21]
.LBB7_28:                               ;   in Loop: Header=BB7_26 Depth=3
	s_or_b32 exec_lo, exec_lo, s25
	s_delay_alu instid0(SALU_CYCLE_1)
	s_mov_b32 s25, exec_lo
	s_wait_dscnt 0x0
	s_barrier_signal -1
	s_barrier_wait -1
	v_cmpx_lt_u32_e64 s24, v0
	s_cbranch_execz .LBB7_25
; %bb.29:                               ;   in Loop: Header=BB7_26 Depth=3
	v_mov_b32_e32 v19, s17
	ds_load_b64 v[20:21], v15
	ds_load_b64 v[22:23], v19
	s_wait_dscnt 0x0
	v_fmac_f64_e32 v[12:13], v[20:21], v[22:23]
	s_branch .LBB7_25
.LBB7_30:                               ;   in Loop: Header=BB7_4 Depth=1
	s_and_saveexec_b32 s17, s0
	s_cbranch_execz .LBB7_2
; %bb.31:                               ;   in Loop: Header=BB7_4 Depth=1
	s_mul_u64 s[14:15], s[10:11], s[2:3]
	s_and_not1_b32 vcc_lo, exec_lo, s20
	s_mov_b32 s24, -1
	s_cbranch_vccnz .LBB7_35
; %bb.32:                               ;   in Loop: Header=BB7_4 Depth=1
	v_add_nc_u64_e32 v[12:13], s[14:15], v[8:9]
	v_mov_b32_e32 v3, v1
	s_mov_b32 s24, 0
	s_mov_b32 s25, s22
.LBB7_33:                               ;   Parent Loop BB7_4 Depth=1
                                        ; =>  This Inner Loop Header: Depth=2
	ds_load_b64 v[14:15], v3
	s_add_co_i32 s25, s25, -1
	v_add_nc_u32_e32 v3, s26, v3
	v_cmp_le_u32_e32 vcc_lo, s25, v0
	s_or_b32 s24, vcc_lo, s24
	s_wait_dscnt 0x0
	global_store_b64 v[12:13], v[14:15], off
	s_wait_xcnt 0x0
	v_add_nc_u64_e32 v[12:13], s[12:13], v[12:13]
	s_and_not1_b32 exec_lo, exec_lo, s24
	s_cbranch_execnz .LBB7_33
; %bb.34:                               ;   in Loop: Header=BB7_4 Depth=1
	s_or_b32 exec_lo, exec_lo, s24
	s_mov_b32 s24, 0
.LBB7_35:                               ;   in Loop: Header=BB7_4 Depth=1
	s_delay_alu instid0(SALU_CYCLE_1)
	s_and_b32 vcc_lo, exec_lo, s24
	s_cbranch_vccz .LBB7_2
; %bb.36:                               ;   in Loop: Header=BB7_4 Depth=1
	v_add_nc_u64_e32 v[12:13], s[14:15], v[10:11]
	v_dual_mov_b32 v3, v2 :: v_dual_mov_b32 v14, v17
	s_mov_b32 s14, 0
.LBB7_37:                               ;   Parent Loop BB7_4 Depth=1
                                        ; =>  This Inner Loop Header: Depth=2
	ds_load_b64 v[20:21], v3
	v_dual_add_nc_u32 v14, -1, v14 :: v_dual_add_nc_u32 v3, s26, v3
	s_delay_alu instid0(VALU_DEP_1)
	v_cmp_eq_u32_e32 vcc_lo, 0, v14
	s_or_b32 s14, vcc_lo, s14
	s_wait_dscnt 0x0
	global_store_b64 v[12:13], v[20:21], off
	s_wait_xcnt 0x0
	v_add_nc_u64_e32 v[12:13], s[8:9], v[12:13]
	s_and_not1_b32 exec_lo, exec_lo, s14
	s_cbranch_execnz .LBB7_37
	s_branch .LBB7_2
.LBB7_38:
	s_endpgm
	.section	.rodata,"a",@progbits
	.p2align	6, 0x0
	.amdhsa_kernel _ZL30rocblas_trtri_remainder_kernelILi16EdPKdPdEv13rocblas_fill_17rocblas_diagonal_iT1_lillT2_lilli
		.amdhsa_group_segment_fixed_size 8192
		.amdhsa_private_segment_fixed_size 0
		.amdhsa_kernarg_size 100
		.amdhsa_user_sgpr_count 2
		.amdhsa_user_sgpr_dispatch_ptr 0
		.amdhsa_user_sgpr_queue_ptr 0
		.amdhsa_user_sgpr_kernarg_segment_ptr 1
		.amdhsa_user_sgpr_dispatch_id 0
		.amdhsa_user_sgpr_kernarg_preload_length 0
		.amdhsa_user_sgpr_kernarg_preload_offset 0
		.amdhsa_user_sgpr_private_segment_size 0
		.amdhsa_wavefront_size32 1
		.amdhsa_uses_dynamic_stack 0
		.amdhsa_enable_private_segment 0
		.amdhsa_system_sgpr_workgroup_id_x 1
		.amdhsa_system_sgpr_workgroup_id_y 0
		.amdhsa_system_sgpr_workgroup_id_z 1
		.amdhsa_system_sgpr_workgroup_info 0
		.amdhsa_system_vgpr_workitem_id 0
		.amdhsa_next_free_vgpr 26
		.amdhsa_next_free_sgpr 38
		.amdhsa_named_barrier_count 0
		.amdhsa_reserve_vcc 1
		.amdhsa_float_round_mode_32 0
		.amdhsa_float_round_mode_16_64 0
		.amdhsa_float_denorm_mode_32 3
		.amdhsa_float_denorm_mode_16_64 3
		.amdhsa_fp16_overflow 0
		.amdhsa_memory_ordered 1
		.amdhsa_forward_progress 1
		.amdhsa_inst_pref_size 11
		.amdhsa_round_robin_scheduling 0
		.amdhsa_exception_fp_ieee_invalid_op 0
		.amdhsa_exception_fp_denorm_src 0
		.amdhsa_exception_fp_ieee_div_zero 0
		.amdhsa_exception_fp_ieee_overflow 0
		.amdhsa_exception_fp_ieee_underflow 0
		.amdhsa_exception_fp_ieee_inexact 0
		.amdhsa_exception_int_div_zero 0
	.end_amdhsa_kernel
	.section	.text._ZL30rocblas_trtri_remainder_kernelILi16EdPKdPdEv13rocblas_fill_17rocblas_diagonal_iT1_lillT2_lilli,"axG",@progbits,_ZL30rocblas_trtri_remainder_kernelILi16EdPKdPdEv13rocblas_fill_17rocblas_diagonal_iT1_lillT2_lilli,comdat
.Lfunc_end7:
	.size	_ZL30rocblas_trtri_remainder_kernelILi16EdPKdPdEv13rocblas_fill_17rocblas_diagonal_iT1_lillT2_lilli, .Lfunc_end7-_ZL30rocblas_trtri_remainder_kernelILi16EdPKdPdEv13rocblas_fill_17rocblas_diagonal_iT1_lillT2_lilli
                                        ; -- End function
	.set _ZL30rocblas_trtri_remainder_kernelILi16EdPKdPdEv13rocblas_fill_17rocblas_diagonal_iT1_lillT2_lilli.num_vgpr, 26
	.set _ZL30rocblas_trtri_remainder_kernelILi16EdPKdPdEv13rocblas_fill_17rocblas_diagonal_iT1_lillT2_lilli.num_agpr, 0
	.set _ZL30rocblas_trtri_remainder_kernelILi16EdPKdPdEv13rocblas_fill_17rocblas_diagonal_iT1_lillT2_lilli.numbered_sgpr, 38
	.set _ZL30rocblas_trtri_remainder_kernelILi16EdPKdPdEv13rocblas_fill_17rocblas_diagonal_iT1_lillT2_lilli.num_named_barrier, 0
	.set _ZL30rocblas_trtri_remainder_kernelILi16EdPKdPdEv13rocblas_fill_17rocblas_diagonal_iT1_lillT2_lilli.private_seg_size, 0
	.set _ZL30rocblas_trtri_remainder_kernelILi16EdPKdPdEv13rocblas_fill_17rocblas_diagonal_iT1_lillT2_lilli.uses_vcc, 1
	.set _ZL30rocblas_trtri_remainder_kernelILi16EdPKdPdEv13rocblas_fill_17rocblas_diagonal_iT1_lillT2_lilli.uses_flat_scratch, 0
	.set _ZL30rocblas_trtri_remainder_kernelILi16EdPKdPdEv13rocblas_fill_17rocblas_diagonal_iT1_lillT2_lilli.has_dyn_sized_stack, 0
	.set _ZL30rocblas_trtri_remainder_kernelILi16EdPKdPdEv13rocblas_fill_17rocblas_diagonal_iT1_lillT2_lilli.has_recursion, 0
	.set _ZL30rocblas_trtri_remainder_kernelILi16EdPKdPdEv13rocblas_fill_17rocblas_diagonal_iT1_lillT2_lilli.has_indirect_call, 0
	.section	.AMDGPU.csdata,"",@progbits
; Kernel info:
; codeLenInByte = 1336
; TotalNumSgprs: 40
; NumVgprs: 26
; ScratchSize: 0
; MemoryBound: 0
; FloatMode: 240
; IeeeMode: 1
; LDSByteSize: 8192 bytes/workgroup (compile time only)
; SGPRBlocks: 0
; VGPRBlocks: 1
; NumSGPRsForWavesPerEU: 40
; NumVGPRsForWavesPerEU: 26
; NamedBarCnt: 0
; Occupancy: 16
; WaveLimiterHint : 0
; COMPUTE_PGM_RSRC2:SCRATCH_EN: 0
; COMPUTE_PGM_RSRC2:USER_SGPR: 2
; COMPUTE_PGM_RSRC2:TRAP_HANDLER: 0
; COMPUTE_PGM_RSRC2:TGID_X_EN: 1
; COMPUTE_PGM_RSRC2:TGID_Y_EN: 0
; COMPUTE_PGM_RSRC2:TGID_Z_EN: 1
; COMPUTE_PGM_RSRC2:TIDIG_COMP_CNT: 0
	.section	.text._ZL18rocblas_trtri_fillILi128E19rocblas_complex_numIfEPS1_EvP15_rocblas_handle13rocblas_fill_ililT1_llii,"axG",@progbits,_ZL18rocblas_trtri_fillILi128E19rocblas_complex_numIfEPS1_EvP15_rocblas_handle13rocblas_fill_ililT1_llii,comdat
	.globl	_ZL18rocblas_trtri_fillILi128E19rocblas_complex_numIfEPS1_EvP15_rocblas_handle13rocblas_fill_ililT1_llii ; -- Begin function _ZL18rocblas_trtri_fillILi128E19rocblas_complex_numIfEPS1_EvP15_rocblas_handle13rocblas_fill_ililT1_llii
	.p2align	8
	.type	_ZL18rocblas_trtri_fillILi128E19rocblas_complex_numIfEPS1_EvP15_rocblas_handle13rocblas_fill_ililT1_llii,@function
_ZL18rocblas_trtri_fillILi128E19rocblas_complex_numIfEPS1_EvP15_rocblas_handle13rocblas_fill_ililT1_llii: ; @_ZL18rocblas_trtri_fillILi128E19rocblas_complex_numIfEPS1_EvP15_rocblas_handle13rocblas_fill_ililT1_llii
; %bb.0:
	s_load_b64 s[2:3], s[0:1], 0x40
	s_bfe_u32 s4, ttmp6, 0x40014
	s_lshr_b32 s5, ttmp7, 16
	s_add_co_i32 s4, s4, 1
	s_bfe_u32 s6, ttmp6, 0x40008
	s_mul_i32 s4, s5, s4
	s_getreg_b32 s17, hwreg(HW_REG_IB_STS2, 6, 4)
	s_add_co_i32 s6, s6, s4
	s_cmp_eq_u32 s17, 0
	s_mov_b32 s19, 0
	s_cselect_b32 s16, s5, s6
	s_wait_kmcnt 0x0
	s_cmp_ge_u32 s16, s3
	s_cbranch_scc1 .LBB8_19
; %bb.1:
	s_clause 0x2
	s_load_b32 s20, s[0:1], 0x18
	s_load_b128 s[12:15], s[0:1], 0x8
	s_load_b256 s[4:11], s[0:1], 0x20
	s_ashr_i32 s23, s2, 31
	s_mov_b32 s22, s2
	s_bfe_u32 s2, ttmp6, 0x4000c
	s_and_b32 s18, ttmp6, 15
	s_add_co_i32 s2, s2, 1
	s_mov_b64 s[28:29], 0xffffffff
	s_mul_i32 s2, ttmp9, s2
	s_add_nc_u64 s[34:35], s[0:1], 0x48
	s_add_co_i32 s18, s18, s2
	s_wait_kmcnt 0x0
	s_ashr_i32 s21, s20, 31
	v_cvt_f32_u32_e32 v1, s14
	s_lshl_b64 s[24:25], s[8:9], 3
	s_cmp_eq_u32 s17, 0
	s_cvt_f32_u32 s2, s14
	s_cvt_f32_u32 s8, s15
	v_rcp_iflag_f32_e32 v1, v1
	s_cselect_b32 s18, ttmp9, s18
	s_add_co_i32 s9, s13, -2
	s_fmamk_f32 s2, s8, 0x4f800000, s2
	v_cvt_f64_i32_e32 v[2:3], s9
	s_sub_co_i32 s17, 0, s14
	s_mul_u64 s[8:9], s[14:15], s[22:23]
	v_mul_f32_e32 v1, 0x4f7ffffe, v1
	v_s_rcp_f32 s2, s2
	s_lshl_b64 s[22:23], s[18:19], 7
	s_add_nc_u64 s[6:7], s[6:7], s[24:25]
	v_or_b32_e32 v0, s22, v0
	v_cvt_u32_f32_e32 v5, v1
	v_mov_b32_e32 v1, s23
	s_ashr_i32 s23, s13, 31
	s_add_co_i32 s24, s13, -1
	s_mov_b32 s22, s13
	v_mul_lo_u32 v4, s17, v5
	s_mul_f32 s17, s2, 0x5f7ffffc
	s_ashr_i32 s25, s24, 31
	s_sub_nc_u64 s[36:37], 0, s[14:15]
	s_mul_u64 s[26:27], s[24:25], s[22:23]
	s_mul_f32 s2, s17, 0x2f800000
	s_lshl_b64 s[24:25], s[26:27], 2
	s_lshr_b64 s[26:27], s[26:27], 1
	s_add_nc_u64 s[24:25], s[24:25], -7
	s_trunc_f32 s13, s2
	v_cmp_gt_u64_e64 s2, s[8:9], v[0:1]
	v_mul_hi_u32 v6, v5, v4
	v_mov_b32_e32 v4, 0
	s_fmamk_f32 s17, s13, 0xcf800000, s17
	s_cvt_u32_f32 s31, s13
	s_delay_alu instid0(SALU_CYCLE_2) | instskip(NEXT) | instid1(VALU_DEP_2)
	s_cvt_u32_f32 s30, s17
	v_add_nc_u32_e32 v14, v5, v6
	s_branch .LBB8_3
.LBB8_2:                                ;   in Loop: Header=BB8_3 Depth=1
	s_or_b32 exec_lo, exec_lo, s1
	s_add_co_i32 s16, s16, 0x10000
	s_delay_alu instid0(SALU_CYCLE_1)
	s_cmp_lt_u32 s16, s3
	s_cbranch_scc0 .LBB8_19
.LBB8_3:                                ; =>This Loop Header: Depth=1
                                        ;     Child Loop BB8_6 Depth 2
	s_and_saveexec_b32 s1, s2
	s_cbranch_execz .LBB8_2
; %bb.4:                                ;   in Loop: Header=BB8_3 Depth=1
	s_clause 0x1
	s_load_b32 s0, s[34:35], 0xc
	s_load_b32 s18, s[34:35], 0x0
	s_mov_b32 s17, s19
	v_mov_b64_e32 v[6:7], v[0:1]
	s_mul_u64 s[38:39], s[10:11], s[16:17]
	s_mov_b32 s41, s19
	s_lshl_b64 s[38:39], s[38:39], 3
	s_mov_b32 s13, 0
	s_add_nc_u64 s[38:39], s[6:7], s[38:39]
	s_wait_kmcnt 0x0
	s_and_b32 s40, s0, 0xffff
	s_delay_alu instid0(SALU_CYCLE_1)
	s_mul_u64 s[40:41], s[40:41], s[18:19]
	s_branch .LBB8_6
.LBB8_5:                                ;   in Loop: Header=BB8_6 Depth=2
	v_add_nc_u64_e32 v[6:7], s[40:41], v[6:7]
	s_delay_alu instid0(VALU_DEP_1)
	v_cmp_le_u64_e32 vcc_lo, s[8:9], v[6:7]
	s_or_b32 s13, vcc_lo, s13
	s_wait_xcnt 0x0
	s_and_not1_b32 exec_lo, exec_lo, s13
	s_cbranch_execz .LBB8_2
.LBB8_6:                                ;   Parent Loop BB8_3 Depth=1
                                        ; =>  This Inner Loop Header: Depth=2
	v_or_b32_e32 v5, s15, v7
                                        ; implicit-def: $vgpr8_vgpr9
	s_mov_b32 s0, exec_lo
	s_delay_alu instid0(VALU_DEP_1)
	v_cmpx_ne_u64_e32 0, v[4:5]
	s_xor_b32 s17, exec_lo, s0
	s_cbranch_execz .LBB8_8
; %bb.7:                                ;   in Loop: Header=BB8_6 Depth=2
	s_mul_u64 s[42:43], s[36:37], s[30:31]
	v_dual_mov_b32 v8, v6 :: v_dual_mov_b32 v9, v4
	s_mul_hi_u32 s45, s30, s43
	s_mul_i32 s44, s30, s43
	s_mul_hi_u32 s18, s30, s42
	s_mul_hi_u32 s0, s31, s42
	s_add_nc_u64 s[44:45], s[18:19], s[44:45]
	s_mul_i32 s18, s31, s42
	s_mul_hi_u32 s33, s31, s43
	s_add_co_u32 s18, s44, s18
	s_add_co_ci_u32 s18, s45, s0
	s_add_co_ci_u32 s45, s33, 0
	s_mul_i32 s44, s31, s43
	v_dual_mov_b32 v10, v7 :: v_dual_mov_b32 v11, v4
	s_add_nc_u64 s[42:43], s[18:19], s[44:45]
	v_mov_b32_e32 v17, v4
	s_add_co_u32 s42, s30, s42
	s_cselect_b32 s0, -1, 0
	s_delay_alu instid0(SALU_CYCLE_1) | instskip(SKIP_1) | instid1(SALU_CYCLE_1)
	s_cmp_lg_u32 s0, 0
	s_add_co_ci_u32 s43, s31, s43
	s_mul_u64 s[44:45], s[36:37], s[42:43]
	s_delay_alu instid0(SALU_CYCLE_1)
	s_mul_hi_u32 s47, s42, s45
	s_mul_i32 s46, s42, s45
	s_mul_hi_u32 s18, s42, s44
	s_mul_i32 s33, s43, s44
	s_add_nc_u64 s[46:47], s[18:19], s[46:47]
	s_mul_hi_u32 s0, s43, s44
	s_mul_hi_u32 s48, s43, s45
	s_add_co_u32 s18, s46, s33
	s_add_co_ci_u32 s18, s47, s0
	s_mul_i32 s44, s43, s45
	s_add_co_ci_u32 s45, s48, 0
	s_delay_alu instid0(SALU_CYCLE_1) | instskip(NEXT) | instid1(SALU_CYCLE_1)
	s_add_nc_u64 s[44:45], s[18:19], s[44:45]
	s_add_co_u32 s0, s42, s44
	s_cselect_b32 s18, -1, 0
	v_mul_hi_u32 v16, v6, s0
	s_cmp_lg_u32 s18, 0
	s_add_co_ci_u32 s18, s43, s45
	s_and_b64 s[42:43], s[0:1], s[28:29]
	v_mul_u64_e32 v[8:9], s[18:19], v[8:9]
	v_mul_u64_e32 v[12:13], s[42:43], v[10:11]
	;; [unrolled: 1-line block ×3, first 2 shown]
	s_delay_alu instid0(VALU_DEP_3) | instskip(NEXT) | instid1(VALU_DEP_1)
	v_add_nc_u64_e32 v[8:9], v[16:17], v[8:9]
	v_add_co_u32 v5, vcc_lo, v8, v12
	s_delay_alu instid0(VALU_DEP_2) | instskip(NEXT) | instid1(VALU_DEP_4)
	v_add_co_ci_u32_e32 v16, vcc_lo, v9, v13, vcc_lo
	v_add_co_ci_u32_e32 v11, vcc_lo, 0, v11, vcc_lo
	s_delay_alu instid0(VALU_DEP_1) | instskip(NEXT) | instid1(VALU_DEP_1)
	v_add_nc_u64_e32 v[8:9], v[16:17], v[10:11]
	v_mul_u64_e32 v[10:11], s[14:15], v[8:9]
	v_add_nc_u64_e32 v[12:13], 2, v[8:9]
	s_delay_alu instid0(VALU_DEP_2) | instskip(NEXT) | instid1(VALU_DEP_3)
	v_sub_nc_u32_e32 v5, v7, v11
	v_sub_co_u32 v10, vcc_lo, v6, v10
	s_delay_alu instid0(VALU_DEP_1) | instskip(NEXT) | instid1(VALU_DEP_3)
	v_sub_co_ci_u32_e64 v17, null, v7, v11, vcc_lo
	v_subrev_co_ci_u32_e64 v5, null, s15, v5, vcc_lo
	s_delay_alu instid0(VALU_DEP_3) | instskip(SKIP_1) | instid1(VALU_DEP_3)
	v_sub_co_u32 v15, s0, v10, s14
	v_cmp_le_u32_e32 vcc_lo, s14, v10
	v_subrev_co_ci_u32_e64 v5, null, 0, v5, s0
	s_delay_alu instid0(VALU_DEP_3) | instskip(SKIP_2) | instid1(VALU_DEP_4)
	v_cmp_le_u32_e64 s0, s14, v15
	v_add_nc_u64_e32 v[10:11], 1, v[8:9]
	v_cndmask_b32_e64 v18, 0, -1, vcc_lo
	v_cmp_eq_u32_e32 vcc_lo, s15, v5
	s_delay_alu instid0(VALU_DEP_4) | instskip(SKIP_1) | instid1(VALU_DEP_1)
	v_cndmask_b32_e64 v15, 0, -1, s0
	v_cmp_le_u32_e64 s0, s15, v5
	v_cndmask_b32_e64 v16, 0, -1, s0
	v_cmp_eq_u32_e64 s0, s15, v17
	s_delay_alu instid0(VALU_DEP_2) | instskip(SKIP_2) | instid1(VALU_DEP_3)
	v_cndmask_b32_e32 v5, v16, v15, vcc_lo
	v_cmp_le_u32_e32 vcc_lo, s15, v17
	v_cndmask_b32_e64 v15, 0, -1, vcc_lo
	v_cmp_ne_u32_e32 vcc_lo, 0, v5
	s_delay_alu instid0(VALU_DEP_2) | instskip(SKIP_1) | instid1(VALU_DEP_2)
	v_dual_cndmask_b32 v5, v15, v18, s0 :: v_dual_cndmask_b32 v10, v10, v12, vcc_lo
	v_cndmask_b32_e32 v11, v11, v13, vcc_lo
	v_cmp_ne_u32_e32 vcc_lo, 0, v5
	s_delay_alu instid0(VALU_DEP_2)
	v_dual_cndmask_b32 v9, v9, v11 :: v_dual_cndmask_b32 v8, v8, v10
.LBB8_8:                                ;   in Loop: Header=BB8_6 Depth=2
	s_and_not1_saveexec_b32 s0, s17
	s_cbranch_execz .LBB8_10
; %bb.9:                                ;   in Loop: Header=BB8_6 Depth=2
	v_mul_hi_u32 v5, v6, v14
	s_delay_alu instid0(VALU_DEP_1) | instskip(NEXT) | instid1(VALU_DEP_1)
	v_mul_lo_u32 v8, v5, s14
	v_dual_add_nc_u32 v9, 1, v5 :: v_dual_sub_nc_u32 v8, v6, v8
	s_delay_alu instid0(VALU_DEP_1) | instskip(SKIP_1) | instid1(VALU_DEP_2)
	v_subrev_nc_u32_e32 v10, s14, v8
	v_cmp_le_u32_e32 vcc_lo, s14, v8
	v_dual_cndmask_b32 v8, v8, v10 :: v_dual_cndmask_b32 v5, v5, v9
	s_delay_alu instid0(VALU_DEP_1) | instskip(NEXT) | instid1(VALU_DEP_2)
	v_cmp_le_u32_e32 vcc_lo, s14, v8
	v_add_nc_u32_e32 v9, 1, v5
	s_delay_alu instid0(VALU_DEP_1)
	v_dual_cndmask_b32 v8, v5, v9 :: v_dual_mov_b32 v9, v4
.LBB8_10:                               ;   in Loop: Header=BB8_6 Depth=2
	s_or_b32 exec_lo, exec_lo, s0
	s_delay_alu instid0(VALU_DEP_1) | instskip(SKIP_1) | instid1(VALU_DEP_1)
	v_mul_u64_e32 v[10:11], s[14:15], v[8:9]
	s_cmp_lt_i32 s12, 0x7a
	v_sub_nc_u64_e32 v[10:11], v[6:7], v[10:11]
	s_cbranch_scc1 .LBB8_13
; %bb.11:                               ;   in Loop: Header=BB8_6 Depth=2
	s_mov_b32 s0, 0
	s_cmp_eq_u32 s12, 0x7a
	s_mov_b32 s17, 0
                                        ; implicit-def: $vgpr12_vgpr13
	s_cbranch_scc0 .LBB8_14
; %bb.12:                               ;   in Loop: Header=BB8_6 Depth=2
	s_delay_alu instid0(VALU_DEP_1) | instskip(SKIP_1) | instid1(VALU_DEP_1)
	v_lshlrev_b64_e32 v[12:13], 3, v[10:11]
	s_mov_b32 s17, -1
	v_sub_nc_u64_e32 v[12:13], s[24:25], v[12:13]
	s_delay_alu instid0(VALU_DEP_1) | instskip(NEXT) | instid1(VALU_DEP_2)
	v_cvt_f64_u32_e32 v[16:17], v13
	v_cvt_f64_u32_e32 v[12:13], v12
	s_delay_alu instid0(VALU_DEP_2) | instskip(NEXT) | instid1(VALU_DEP_1)
	v_ldexp_f64 v[16:17], v[16:17], 32
	v_add_f64_e32 v[12:13], v[16:17], v[12:13]
	s_delay_alu instid0(VALU_DEP_1) | instskip(SKIP_1) | instid1(VALU_DEP_1)
	v_cmp_gt_f64_e32 vcc_lo, 0x10000000, v[12:13]
	v_cndmask_b32_e64 v5, 0, 0x100, vcc_lo
	v_ldexp_f64 v[12:13], v[12:13], v5
	v_cndmask_b32_e64 v5, 0, 0xffffff80, vcc_lo
	s_delay_alu instid0(VALU_DEP_2) | instskip(SKIP_1) | instid1(TRANS32_DEP_1)
	v_rsq_f64_e32 v[16:17], v[12:13]
	v_cmp_class_f64_e64 vcc_lo, v[12:13], 0x260
	v_mul_f64_e32 v[18:19], v[12:13], v[16:17]
	v_mul_f64_e32 v[16:17], 0.5, v[16:17]
	s_delay_alu instid0(VALU_DEP_1) | instskip(NEXT) | instid1(VALU_DEP_1)
	v_fma_f64 v[20:21], -v[16:17], v[18:19], 0.5
	v_fmac_f64_e32 v[18:19], v[18:19], v[20:21]
	v_fmac_f64_e32 v[16:17], v[16:17], v[20:21]
	s_delay_alu instid0(VALU_DEP_2) | instskip(NEXT) | instid1(VALU_DEP_1)
	v_fma_f64 v[20:21], -v[18:19], v[18:19], v[12:13]
	v_fmac_f64_e32 v[18:19], v[20:21], v[16:17]
	s_delay_alu instid0(VALU_DEP_1) | instskip(NEXT) | instid1(VALU_DEP_1)
	v_fma_f64 v[20:21], -v[18:19], v[18:19], v[12:13]
	v_fmac_f64_e32 v[18:19], v[20:21], v[16:17]
	s_delay_alu instid0(VALU_DEP_1) | instskip(SKIP_1) | instid1(VALU_DEP_2)
	v_ldexp_f64 v[16:17], v[18:19], v5
	v_mul_u64_e32 v[18:19], s[4:5], v[8:9]
	v_dual_cndmask_b32 v13, v17, v13 :: v_dual_cndmask_b32 v12, v16, v12
	s_delay_alu instid0(VALU_DEP_2) | instskip(NEXT) | instid1(VALU_DEP_2)
	v_lshl_add_u64 v[18:19], v[18:19], 3, s[38:39]
	v_fma_f64 v[12:13], v[12:13], 0.5, -0.5
	s_delay_alu instid0(VALU_DEP_1) | instskip(NEXT) | instid1(VALU_DEP_1)
	v_floor_f64_e32 v[12:13], v[12:13]
	v_add_f64_e64 v[12:13], v[2:3], -v[12:13]
	s_delay_alu instid0(VALU_DEP_1) | instskip(NEXT) | instid1(VALU_DEP_1)
	v_trunc_f64_e32 v[12:13], v[12:13]
	v_ldexp_f64 v[16:17], v[12:13], 0xffffffe0
	s_delay_alu instid0(VALU_DEP_1) | instskip(NEXT) | instid1(VALU_DEP_1)
	v_floor_f64_e32 v[16:17], v[16:17]
	v_fmac_f64_e32 v[12:13], 0xc1f00000, v[16:17]
	s_delay_alu instid0(VALU_DEP_1) | instskip(SKIP_1) | instid1(VALU_DEP_1)
	v_cvt_u32_f64_e32 v12, v[12:13]
	v_cvt_u32_f64_e32 v13, v[16:17]
	v_sub_nc_u64_e32 v[16:17], s[22:23], v[12:13]
	v_mul_u64_e32 v[22:23], s[20:21], v[12:13]
	s_delay_alu instid0(VALU_DEP_2) | instskip(NEXT) | instid1(VALU_DEP_1)
	v_add_nc_u64_e32 v[20:21], -1, v[16:17]
	v_mul_u64_e32 v[16:17], v[20:21], v[16:17]
	v_sub_nc_u64_e64 v[20:21], v[10:11], s[26:27]
	s_delay_alu instid0(VALU_DEP_4) | instskip(NEXT) | instid1(VALU_DEP_1)
	v_lshl_add_u64 v[18:19], v[22:23], 3, v[18:19]
	v_lshl_add_u64 v[18:19], v[20:21], 3, v[18:19]
	s_delay_alu instid0(VALU_DEP_1) | instskip(SKIP_1) | instid1(VALU_DEP_1)
	v_lshl_add_u64 v[12:13], v[12:13], 3, v[18:19]
	v_lshlrev_b64_e32 v[16:17], 2, v[16:17]
	v_and_b32_e32 v16, -8, v16
	s_delay_alu instid0(VALU_DEP_1) | instskip(NEXT) | instid1(VALU_DEP_1)
	v_add_nc_u64_e32 v[16:17], v[12:13], v[16:17]
	v_add_nc_u64_e32 v[12:13], 8, v[16:17]
	global_store_b32 v[16:17], v4, off offset:8
	s_branch .LBB8_14
.LBB8_13:                               ;   in Loop: Header=BB8_6 Depth=2
	s_mov_b32 s0, -1
	s_mov_b32 s17, 0
                                        ; implicit-def: $vgpr12_vgpr13
.LBB8_14:                               ;   in Loop: Header=BB8_6 Depth=2
	s_and_b32 vcc_lo, exec_lo, s0
	s_cbranch_vccz .LBB8_17
; %bb.15:                               ;   in Loop: Header=BB8_6 Depth=2
	s_cmp_eq_u32 s12, 0x79
                                        ; implicit-def: $vgpr12_vgpr13
	s_cbranch_scc0 .LBB8_17
; %bb.16:                               ;   in Loop: Header=BB8_6 Depth=2
	v_lshlrev_b64_e32 v[12:13], 3, v[10:11]
	v_mul_u64_e32 v[8:9], s[4:5], v[8:9]
	s_mov_b32 s17, -1
	s_wait_xcnt 0x0
	s_delay_alu instid0(VALU_DEP_2) | instskip(NEXT) | instid1(VALU_DEP_3)
	v_cvt_f64_u32_e32 v[16:17], v13
	v_or_b32_e32 v5, 1, v12
	s_delay_alu instid0(VALU_DEP_1) | instskip(NEXT) | instid1(VALU_DEP_4)
	v_cvt_f64_u32_e32 v[12:13], v5
	v_lshl_add_u64 v[8:9], v[8:9], 3, s[38:39]
	s_delay_alu instid0(VALU_DEP_4) | instskip(NEXT) | instid1(VALU_DEP_1)
	v_ldexp_f64 v[16:17], v[16:17], 32
	v_add_f64_e32 v[12:13], v[16:17], v[12:13]
	s_delay_alu instid0(VALU_DEP_1) | instskip(SKIP_1) | instid1(VALU_DEP_1)
	v_cmp_gt_f64_e32 vcc_lo, 0x10000000, v[12:13]
	v_cndmask_b32_e64 v5, 0, 0x100, vcc_lo
	v_ldexp_f64 v[12:13], v[12:13], v5
	v_cndmask_b32_e64 v5, 0, 0xffffff80, vcc_lo
	s_delay_alu instid0(VALU_DEP_2) | instskip(SKIP_1) | instid1(TRANS32_DEP_1)
	v_rsq_f64_e32 v[16:17], v[12:13]
	v_cmp_class_f64_e64 vcc_lo, v[12:13], 0x260
	v_mul_f64_e32 v[18:19], v[12:13], v[16:17]
	v_mul_f64_e32 v[16:17], 0.5, v[16:17]
	s_delay_alu instid0(VALU_DEP_1) | instskip(NEXT) | instid1(VALU_DEP_1)
	v_fma_f64 v[20:21], -v[16:17], v[18:19], 0.5
	v_fmac_f64_e32 v[18:19], v[18:19], v[20:21]
	v_fmac_f64_e32 v[16:17], v[16:17], v[20:21]
	s_delay_alu instid0(VALU_DEP_2) | instskip(NEXT) | instid1(VALU_DEP_1)
	v_fma_f64 v[20:21], -v[18:19], v[18:19], v[12:13]
	v_fmac_f64_e32 v[18:19], v[20:21], v[16:17]
	s_delay_alu instid0(VALU_DEP_1) | instskip(NEXT) | instid1(VALU_DEP_1)
	v_fma_f64 v[20:21], -v[18:19], v[18:19], v[12:13]
	v_fmac_f64_e32 v[18:19], v[20:21], v[16:17]
	s_delay_alu instid0(VALU_DEP_1) | instskip(NEXT) | instid1(VALU_DEP_1)
	v_ldexp_f64 v[16:17], v[18:19], v5
	v_dual_cndmask_b32 v13, v17, v13 :: v_dual_cndmask_b32 v12, v16, v12
	s_delay_alu instid0(VALU_DEP_1) | instskip(NEXT) | instid1(VALU_DEP_1)
	v_add_f64_e32 v[12:13], -1.0, v[12:13]
	v_mul_f64_e32 v[12:13], 0.5, v[12:13]
	s_delay_alu instid0(VALU_DEP_1) | instskip(NEXT) | instid1(VALU_DEP_1)
	v_trunc_f64_e32 v[12:13], v[12:13]
	v_ldexp_f64 v[16:17], v[12:13], 0xffffffe0
	s_delay_alu instid0(VALU_DEP_1) | instskip(NEXT) | instid1(VALU_DEP_1)
	v_floor_f64_e32 v[16:17], v[16:17]
	v_fmac_f64_e32 v[12:13], 0xc1f00000, v[16:17]
	s_delay_alu instid0(VALU_DEP_1) | instskip(SKIP_1) | instid1(VALU_DEP_2)
	v_cvt_u32_f64_e32 v12, v[12:13]
	v_cvt_u32_f64_e32 v13, v[16:17]
	v_mad_nc_u64_u32 v[16:17], s20, v12, s[20:21]
	s_delay_alu instid0(VALU_DEP_2) | instskip(SKIP_1) | instid1(VALU_DEP_3)
	v_mad_nc_u64_u32 v[18:19], v12, v12, v[12:13]
	v_mul_lo_u32 v5, v12, v13
	v_mad_u32 v12, s21, v12, v17
	s_delay_alu instid0(VALU_DEP_2) | instskip(NEXT) | instid1(VALU_DEP_2)
	v_add3_u32 v19, v5, v19, v5
	v_mad_u32 v17, s20, v13, v12
	s_delay_alu instid0(VALU_DEP_2) | instskip(NEXT) | instid1(VALU_DEP_1)
	v_lshrrev_b64 v[12:13], 1, v[18:19]
	v_sub_nc_u64_e32 v[10:11], v[10:11], v[12:13]
	s_delay_alu instid0(VALU_DEP_3) | instskip(NEXT) | instid1(VALU_DEP_1)
	v_lshl_add_u64 v[8:9], v[16:17], 3, v[8:9]
	v_lshl_add_u64 v[12:13], v[10:11], 3, v[8:9]
	global_store_b32 v[12:13], v4, off
.LBB8_17:                               ;   in Loop: Header=BB8_6 Depth=2
	s_and_b32 vcc_lo, exec_lo, s17
	s_cbranch_vccz .LBB8_5
; %bb.18:                               ;   in Loop: Header=BB8_6 Depth=2
	global_store_b32 v[12:13], v4, off offset:4
	s_branch .LBB8_5
.LBB8_19:
	s_endpgm
	.section	.rodata,"a",@progbits
	.p2align	6, 0x0
	.amdhsa_kernel _ZL18rocblas_trtri_fillILi128E19rocblas_complex_numIfEPS1_EvP15_rocblas_handle13rocblas_fill_ililT1_llii
		.amdhsa_group_segment_fixed_size 0
		.amdhsa_private_segment_fixed_size 0
		.amdhsa_kernarg_size 328
		.amdhsa_user_sgpr_count 2
		.amdhsa_user_sgpr_dispatch_ptr 0
		.amdhsa_user_sgpr_queue_ptr 0
		.amdhsa_user_sgpr_kernarg_segment_ptr 1
		.amdhsa_user_sgpr_dispatch_id 0
		.amdhsa_user_sgpr_kernarg_preload_length 0
		.amdhsa_user_sgpr_kernarg_preload_offset 0
		.amdhsa_user_sgpr_private_segment_size 0
		.amdhsa_wavefront_size32 1
		.amdhsa_uses_dynamic_stack 0
		.amdhsa_enable_private_segment 0
		.amdhsa_system_sgpr_workgroup_id_x 1
		.amdhsa_system_sgpr_workgroup_id_y 0
		.amdhsa_system_sgpr_workgroup_id_z 1
		.amdhsa_system_sgpr_workgroup_info 0
		.amdhsa_system_vgpr_workitem_id 0
		.amdhsa_next_free_vgpr 24
		.amdhsa_next_free_sgpr 49
		.amdhsa_named_barrier_count 0
		.amdhsa_reserve_vcc 1
		.amdhsa_float_round_mode_32 0
		.amdhsa_float_round_mode_16_64 0
		.amdhsa_float_denorm_mode_32 3
		.amdhsa_float_denorm_mode_16_64 3
		.amdhsa_fp16_overflow 0
		.amdhsa_memory_ordered 1
		.amdhsa_forward_progress 1
		.amdhsa_inst_pref_size 15
		.amdhsa_round_robin_scheduling 0
		.amdhsa_exception_fp_ieee_invalid_op 0
		.amdhsa_exception_fp_denorm_src 0
		.amdhsa_exception_fp_ieee_div_zero 0
		.amdhsa_exception_fp_ieee_overflow 0
		.amdhsa_exception_fp_ieee_underflow 0
		.amdhsa_exception_fp_ieee_inexact 0
		.amdhsa_exception_int_div_zero 0
	.end_amdhsa_kernel
	.section	.text._ZL18rocblas_trtri_fillILi128E19rocblas_complex_numIfEPS1_EvP15_rocblas_handle13rocblas_fill_ililT1_llii,"axG",@progbits,_ZL18rocblas_trtri_fillILi128E19rocblas_complex_numIfEPS1_EvP15_rocblas_handle13rocblas_fill_ililT1_llii,comdat
.Lfunc_end8:
	.size	_ZL18rocblas_trtri_fillILi128E19rocblas_complex_numIfEPS1_EvP15_rocblas_handle13rocblas_fill_ililT1_llii, .Lfunc_end8-_ZL18rocblas_trtri_fillILi128E19rocblas_complex_numIfEPS1_EvP15_rocblas_handle13rocblas_fill_ililT1_llii
                                        ; -- End function
	.set _ZL18rocblas_trtri_fillILi128E19rocblas_complex_numIfEPS1_EvP15_rocblas_handle13rocblas_fill_ililT1_llii.num_vgpr, 24
	.set _ZL18rocblas_trtri_fillILi128E19rocblas_complex_numIfEPS1_EvP15_rocblas_handle13rocblas_fill_ililT1_llii.num_agpr, 0
	.set _ZL18rocblas_trtri_fillILi128E19rocblas_complex_numIfEPS1_EvP15_rocblas_handle13rocblas_fill_ililT1_llii.numbered_sgpr, 49
	.set _ZL18rocblas_trtri_fillILi128E19rocblas_complex_numIfEPS1_EvP15_rocblas_handle13rocblas_fill_ililT1_llii.num_named_barrier, 0
	.set _ZL18rocblas_trtri_fillILi128E19rocblas_complex_numIfEPS1_EvP15_rocblas_handle13rocblas_fill_ililT1_llii.private_seg_size, 0
	.set _ZL18rocblas_trtri_fillILi128E19rocblas_complex_numIfEPS1_EvP15_rocblas_handle13rocblas_fill_ililT1_llii.uses_vcc, 1
	.set _ZL18rocblas_trtri_fillILi128E19rocblas_complex_numIfEPS1_EvP15_rocblas_handle13rocblas_fill_ililT1_llii.uses_flat_scratch, 0
	.set _ZL18rocblas_trtri_fillILi128E19rocblas_complex_numIfEPS1_EvP15_rocblas_handle13rocblas_fill_ililT1_llii.has_dyn_sized_stack, 0
	.set _ZL18rocblas_trtri_fillILi128E19rocblas_complex_numIfEPS1_EvP15_rocblas_handle13rocblas_fill_ililT1_llii.has_recursion, 0
	.set _ZL18rocblas_trtri_fillILi128E19rocblas_complex_numIfEPS1_EvP15_rocblas_handle13rocblas_fill_ililT1_llii.has_indirect_call, 0
	.section	.AMDGPU.csdata,"",@progbits
; Kernel info:
; codeLenInByte = 1856
; TotalNumSgprs: 51
; NumVgprs: 24
; ScratchSize: 0
; MemoryBound: 0
; FloatMode: 240
; IeeeMode: 1
; LDSByteSize: 0 bytes/workgroup (compile time only)
; SGPRBlocks: 0
; VGPRBlocks: 1
; NumSGPRsForWavesPerEU: 51
; NumVGPRsForWavesPerEU: 24
; NamedBarCnt: 0
; Occupancy: 16
; WaveLimiterHint : 0
; COMPUTE_PGM_RSRC2:SCRATCH_EN: 0
; COMPUTE_PGM_RSRC2:USER_SGPR: 2
; COMPUTE_PGM_RSRC2:TRAP_HANDLER: 0
; COMPUTE_PGM_RSRC2:TGID_X_EN: 1
; COMPUTE_PGM_RSRC2:TGID_Y_EN: 0
; COMPUTE_PGM_RSRC2:TGID_Z_EN: 1
; COMPUTE_PGM_RSRC2:TIDIG_COMP_CNT: 0
	.section	.text._ZL26rocblas_trtri_small_kernelILi16E19rocblas_complex_numIfEPKS1_PS1_Ev13rocblas_fill_17rocblas_diagonal_iT1_lillT2_lilli,"axG",@progbits,_ZL26rocblas_trtri_small_kernelILi16E19rocblas_complex_numIfEPKS1_PS1_Ev13rocblas_fill_17rocblas_diagonal_iT1_lillT2_lilli,comdat
	.globl	_ZL26rocblas_trtri_small_kernelILi16E19rocblas_complex_numIfEPKS1_PS1_Ev13rocblas_fill_17rocblas_diagonal_iT1_lillT2_lilli ; -- Begin function _ZL26rocblas_trtri_small_kernelILi16E19rocblas_complex_numIfEPKS1_PS1_Ev13rocblas_fill_17rocblas_diagonal_iT1_lillT2_lilli
	.p2align	8
	.type	_ZL26rocblas_trtri_small_kernelILi16E19rocblas_complex_numIfEPKS1_PS1_Ev13rocblas_fill_17rocblas_diagonal_iT1_lillT2_lilli,@function
_ZL26rocblas_trtri_small_kernelILi16E19rocblas_complex_numIfEPKS1_PS1_Ev13rocblas_fill_17rocblas_diagonal_iT1_lillT2_lilli: ; @_ZL26rocblas_trtri_small_kernelILi16E19rocblas_complex_numIfEPKS1_PS1_Ev13rocblas_fill_17rocblas_diagonal_iT1_lillT2_lilli
; %bb.0:
	s_load_b32 s23, s[0:1], 0x60
	s_bfe_u32 s2, ttmp6, 0x40014
	s_lshr_b32 s3, ttmp7, 16
	s_add_co_i32 s2, s2, 1
	s_bfe_u32 s4, ttmp6, 0x40008
	s_mul_i32 s2, s3, s2
	s_getreg_b32 s26, hwreg(HW_REG_IB_STS2, 6, 4)
	s_add_co_i32 s4, s4, s2
	s_cmp_eq_u32 s26, 0
	s_cselect_b32 s2, s3, s4
	s_mov_b32 s3, 0
	s_wait_kmcnt 0x0
	s_cmp_ge_u32 s2, s23
	s_cbranch_scc1 .LBB9_45
; %bb.1:
	s_clause 0x5
	s_load_b32 s28, s[0:1], 0x20
	s_load_b32 s24, s[0:1], 0x48
	s_load_b96 s[20:22], s[0:1], 0x0
	s_load_b256 s[4:11], s[0:1], 0x28
	s_load_b128 s[16:19], s[0:1], 0x10
	s_load_b128 s[12:15], s[0:1], 0x50
	s_wait_xcnt 0x0
	s_bfe_u32 s1, ttmp6, 0x4000c
	s_and_b32 s0, ttmp6, 15
	s_add_co_i32 s1, s1, 1
	s_mov_b32 s31, s3
	s_mul_i32 s1, ttmp9, s1
	s_mov_b32 s35, s3
	s_add_co_i32 s1, s0, s1
	v_mov_b64_e32 v[12:13], 0x3f800000
	v_mov_b32_e32 v3, 0
	s_wait_kmcnt 0x0
	s_ashr_i32 s29, s28, 31
	s_ashr_i32 s25, s24, 31
	s_cmp_eq_u32 s26, 0
	v_mul_lo_u32 v4, v0, s22
	s_cselect_b32 s30, ttmp9, s1
	s_cmp_gt_i32 s22, 0
	s_mul_u64 s[6:7], s[6:7], s[30:31]
	s_cselect_b32 s26, -1, 0
	s_cmp_lg_u32 s20, 0x7a
	s_mul_u64 s[14:15], s[14:15], s[30:31]
	s_cselect_b32 s20, -1, 0
	s_add_co_i32 s34, s22, -1
	s_delay_alu instid0(SALU_CYCLE_1)
	v_dual_lshlrev_b32 v2, 3, v0 :: v_dual_sub_nc_u32 v1, s34, v0
	s_cmp_lg_u32 s21, 0x84
	s_mul_u64 s[36:37], s[28:29], s[34:35]
	s_cselect_b32 s21, -1, 0
	s_lshl_b64 s[6:7], s[6:7], 3
	s_lshl_b64 s[18:19], s[18:19], 3
	;; [unrolled: 1-line block ×3, first 2 shown]
	s_add_nc_u64 s[38:39], s[6:7], s[18:19]
	v_lshlrev_b32_e32 v1, 3, v1
	s_add_nc_u64 s[6:7], s[38:39], s[36:37]
	s_lshl_b64 s[14:15], s[14:15], 3
	s_add_nc_u64 s[6:7], s[16:17], s[6:7]
	s_add_nc_u64 s[16:17], s[16:17], s[38:39]
	s_lshl_b64 s[10:11], s[10:11], 3
	v_add_nc_u64_e32 v[6:7], s[16:17], v[2:3]
	s_mul_u64 s[16:17], s[24:25], s[34:35]
	s_add_nc_u64 s[10:11], s[14:15], s[10:11]
	s_lshl_b64 s[16:17], s[16:17], 3
	v_add_lshl_u32 v18, v4, v0, 3
	s_add_nc_u64 s[14:15], s[10:11], s[16:17]
	s_lshl_b32 s27, s22, 3
	s_add_nc_u64 s[14:15], s[8:9], s[14:15]
	s_add_nc_u64 s[8:9], s[8:9], s[10:11]
	v_add_nc_u64_e32 v[4:5], s[6:7], v[2:3]
	v_add_nc_u64_e32 v[8:9], s[14:15], v[2:3]
	;; [unrolled: 1-line block ×3, first 2 shown]
	v_cmp_gt_u32_e64 s0, s22, v0
	v_dual_add_nc_u32 v19, 1, v0 :: v_dual_add_nc_u32 v20, s27, v2
	s_lshl_b64 s[6:7], s[28:29], 3
	s_lshl_b64 s[8:9], s[24:25], 3
	;; [unrolled: 1-line block ×3, first 2 shown]
	s_sub_nc_u64 s[18:19], 0, s[6:7]
	s_add_co_i32 s16, s27, 8
	s_lshl_b64 s[10:11], s[12:13], 3
	s_sub_nc_u64 s[12:13], 0, s[8:9]
	s_branch .LBB9_4
.LBB9_2:                                ;   in Loop: Header=BB9_4 Depth=1
	s_or_b32 exec_lo, exec_lo, s1
.LBB9_3:                                ;   in Loop: Header=BB9_4 Depth=1
	s_add_co_i32 s2, s2, 0x10000
	s_delay_alu instid0(SALU_CYCLE_1)
	s_cmp_lt_u32 s2, s23
	s_cbranch_scc0 .LBB9_45
.LBB9_4:                                ; =>This Loop Header: Depth=1
                                        ;     Child Loop BB9_8 Depth 2
                                        ;     Child Loop BB9_12 Depth 2
	;; [unrolled: 1-line block ×3, first 2 shown]
                                        ;       Child Loop BB9_33 Depth 3
                                        ;     Child Loop BB9_40 Depth 2
                                        ;     Child Loop BB9_44 Depth 2
	s_and_not1_b32 vcc_lo, exec_lo, s26
	s_cbranch_vccnz .LBB9_3
; %bb.5:                                ;   in Loop: Header=BB9_4 Depth=1
	s_and_saveexec_b32 s1, s0
	s_cbranch_execz .LBB9_13
; %bb.6:                                ;   in Loop: Header=BB9_4 Depth=1
	s_mul_u64 s[14:15], s[4:5], s[2:3]
	s_and_not1_b32 vcc_lo, exec_lo, s20
	s_mov_b32 s17, -1
	s_cbranch_vccnz .LBB9_10
; %bb.7:                                ;   in Loop: Header=BB9_4 Depth=1
	v_add_nc_u64_e32 v[14:15], s[14:15], v[4:5]
	v_mov_b32_e32 v3, v1
	s_mov_b32 s17, 0
	s_mov_b32 s24, s22
.LBB9_8:                                ;   Parent Loop BB9_4 Depth=1
                                        ; =>  This Inner Loop Header: Depth=2
	global_load_b64 v[16:17], v[14:15], off
	s_add_co_i32 s24, s24, -1
	s_wait_xcnt 0x0
	v_add_nc_u64_e32 v[14:15], s[18:19], v[14:15]
	v_cmp_le_u32_e32 vcc_lo, s24, v0
	s_or_b32 s17, vcc_lo, s17
	s_wait_loadcnt 0x0
	ds_store_b64 v3, v[16:17]
	v_add_nc_u32_e32 v3, s27, v3
	s_and_not1_b32 exec_lo, exec_lo, s17
	s_cbranch_execnz .LBB9_8
; %bb.9:                                ;   in Loop: Header=BB9_4 Depth=1
	s_or_b32 exec_lo, exec_lo, s17
	s_mov_b32 s17, 0
.LBB9_10:                               ;   in Loop: Header=BB9_4 Depth=1
	s_delay_alu instid0(SALU_CYCLE_1)
	s_and_b32 vcc_lo, exec_lo, s17
	s_cbranch_vccz .LBB9_13
; %bb.11:                               ;   in Loop: Header=BB9_4 Depth=1
	v_add_nc_u64_e32 v[14:15], s[14:15], v[6:7]
	v_dual_mov_b32 v3, v2 :: v_dual_mov_b32 v16, v19
	s_mov_b32 s14, 0
.LBB9_12:                               ;   Parent Loop BB9_4 Depth=1
                                        ; =>  This Inner Loop Header: Depth=2
	global_load_b64 v[22:23], v[14:15], off
	v_add_nc_u32_e32 v16, -1, v16
	s_wait_xcnt 0x0
	v_add_nc_u64_e32 v[14:15], s[6:7], v[14:15]
	s_wait_loadcnt 0x0
	ds_store_b64 v3, v[22:23]
	v_add_nc_u32_e32 v3, s27, v3
	v_cmp_eq_u32_e32 vcc_lo, 0, v16
	s_or_b32 s14, vcc_lo, s14
	s_delay_alu instid0(SALU_CYCLE_1)
	s_and_not1_b32 exec_lo, exec_lo, s14
	s_cbranch_execnz .LBB9_12
.LBB9_13:                               ;   in Loop: Header=BB9_4 Depth=1
	s_or_b32 exec_lo, exec_lo, s1
	s_wait_dscnt 0x0
	; wave barrier
	s_and_saveexec_b32 s14, s0
	s_cbranch_execz .LBB9_26
; %bb.14:                               ;   in Loop: Header=BB9_4 Depth=1
	s_and_b32 vcc_lo, exec_lo, s21
	s_mov_b32 s1, -1
	s_cbranch_vccz .LBB9_24
; %bb.15:                               ;   in Loop: Header=BB9_4 Depth=1
	ds_load_b64 v[14:15], v18
	s_wait_dscnt 0x0
	v_cmp_neq_f32_e32 vcc_lo, 0, v14
	v_cmp_neq_f32_e64 s1, 0, v15
	s_or_b32 s1, vcc_lo, s1
	s_delay_alu instid0(SALU_CYCLE_1) | instskip(NEXT) | instid1(SALU_CYCLE_1)
	s_and_saveexec_b32 s15, s1
	s_xor_b32 s1, exec_lo, s15
	s_cbranch_execz .LBB9_21
; %bb.16:                               ;   in Loop: Header=BB9_4 Depth=1
	v_cmp_ngt_f32_e64 s15, |v14|, |v15|
                                        ; implicit-def: $vgpr16_vgpr17
	s_and_saveexec_b32 s17, s15
	s_delay_alu instid0(SALU_CYCLE_1)
	s_xor_b32 s15, exec_lo, s17
	s_cbranch_execz .LBB9_18
; %bb.17:                               ;   in Loop: Header=BB9_4 Depth=1
	v_div_scale_f32 v3, null, v15, v15, v14
	v_div_scale_f32 v21, vcc_lo, v14, v15, v14
	s_delay_alu instid0(VALU_DEP_2) | instskip(SKIP_1) | instid1(TRANS32_DEP_1)
	v_rcp_f32_e32 v16, v3
	v_nop
	v_fma_f32 v17, -v3, v16, 1.0
	s_delay_alu instid0(VALU_DEP_1) | instskip(NEXT) | instid1(VALU_DEP_1)
	v_fmac_f32_e32 v16, v17, v16
	v_mul_f32_e32 v17, v21, v16
	s_delay_alu instid0(VALU_DEP_1) | instskip(NEXT) | instid1(VALU_DEP_1)
	v_fma_f32 v22, -v3, v17, v21
	v_fmac_f32_e32 v17, v22, v16
	s_delay_alu instid0(VALU_DEP_1) | instskip(NEXT) | instid1(VALU_DEP_1)
	v_fma_f32 v3, -v3, v17, v21
	v_div_fmas_f32 v3, v3, v16, v17
	s_delay_alu instid0(VALU_DEP_1) | instskip(NEXT) | instid1(VALU_DEP_1)
	v_div_fixup_f32 v3, v3, v15, v14
	v_fmac_f32_e32 v15, v14, v3
	s_delay_alu instid0(VALU_DEP_1) | instskip(SKIP_1) | instid1(VALU_DEP_2)
	v_div_scale_f32 v14, null, v15, v15, 1.0
	v_div_scale_f32 v21, vcc_lo, 1.0, v15, 1.0
	v_rcp_f32_e32 v16, v14
	v_nop
	s_delay_alu instid0(TRANS32_DEP_1) | instskip(NEXT) | instid1(VALU_DEP_1)
	v_fma_f32 v17, -v14, v16, 1.0
	v_fmac_f32_e32 v16, v17, v16
	s_delay_alu instid0(VALU_DEP_1) | instskip(NEXT) | instid1(VALU_DEP_1)
	v_mul_f32_e32 v17, v21, v16
	v_fma_f32 v22, -v14, v17, v21
	s_delay_alu instid0(VALU_DEP_1) | instskip(NEXT) | instid1(VALU_DEP_1)
	v_fmac_f32_e32 v17, v22, v16
	v_fma_f32 v14, -v14, v17, v21
	s_delay_alu instid0(VALU_DEP_1) | instskip(NEXT) | instid1(VALU_DEP_1)
	v_div_fmas_f32 v14, v14, v16, v17
	v_div_fixup_f32 v14, v14, v15, 1.0
	s_delay_alu instid0(VALU_DEP_1)
	v_mul_f32_e32 v16, v3, v14
	v_xor_b32_e32 v17, 0x80000000, v14
                                        ; implicit-def: $vgpr14_vgpr15
.LBB9_18:                               ;   in Loop: Header=BB9_4 Depth=1
	s_and_not1_saveexec_b32 s15, s15
	s_cbranch_execz .LBB9_20
; %bb.19:                               ;   in Loop: Header=BB9_4 Depth=1
	v_div_scale_f32 v3, null, v14, v14, v15
	v_div_scale_f32 v21, vcc_lo, v15, v14, v15
	s_delay_alu instid0(VALU_DEP_2) | instskip(SKIP_1) | instid1(TRANS32_DEP_1)
	v_rcp_f32_e32 v16, v3
	v_nop
	v_fma_f32 v17, -v3, v16, 1.0
	s_delay_alu instid0(VALU_DEP_1) | instskip(NEXT) | instid1(VALU_DEP_1)
	v_fmac_f32_e32 v16, v17, v16
	v_mul_f32_e32 v17, v21, v16
	s_delay_alu instid0(VALU_DEP_1) | instskip(NEXT) | instid1(VALU_DEP_1)
	v_fma_f32 v22, -v3, v17, v21
	v_fmac_f32_e32 v17, v22, v16
	s_delay_alu instid0(VALU_DEP_1) | instskip(NEXT) | instid1(VALU_DEP_1)
	v_fma_f32 v3, -v3, v17, v21
	v_div_fmas_f32 v3, v3, v16, v17
	s_delay_alu instid0(VALU_DEP_1) | instskip(NEXT) | instid1(VALU_DEP_1)
	v_div_fixup_f32 v3, v3, v14, v15
	v_fmac_f32_e32 v14, v15, v3
	s_delay_alu instid0(VALU_DEP_1) | instskip(NEXT) | instid1(VALU_DEP_1)
	v_div_scale_f32 v15, null, v14, v14, 1.0
	v_rcp_f32_e32 v16, v15
	v_nop
	s_delay_alu instid0(TRANS32_DEP_1) | instskip(NEXT) | instid1(VALU_DEP_1)
	v_fma_f32 v17, -v15, v16, 1.0
	v_fmac_f32_e32 v16, v17, v16
	v_div_scale_f32 v17, vcc_lo, 1.0, v14, 1.0
	s_delay_alu instid0(VALU_DEP_1) | instskip(NEXT) | instid1(VALU_DEP_1)
	v_mul_f32_e32 v21, v17, v16
	v_fma_f32 v22, -v15, v21, v17
	s_delay_alu instid0(VALU_DEP_1) | instskip(NEXT) | instid1(VALU_DEP_1)
	v_fmac_f32_e32 v21, v22, v16
	v_fma_f32 v15, -v15, v21, v17
	s_delay_alu instid0(VALU_DEP_1) | instskip(NEXT) | instid1(VALU_DEP_1)
	v_div_fmas_f32 v15, v15, v16, v21
	v_div_fixup_f32 v16, v15, v14, 1.0
	s_delay_alu instid0(VALU_DEP_1)
	v_mul_f32_e64 v17, v3, -v16
.LBB9_20:                               ;   in Loop: Header=BB9_4 Depth=1
	s_or_b32 exec_lo, exec_lo, s15
	ds_store_b64 v18, v[16:17]
.LBB9_21:                               ;   in Loop: Header=BB9_4 Depth=1
	s_and_not1_saveexec_b32 s1, s1
; %bb.22:                               ;   in Loop: Header=BB9_4 Depth=1
	ds_store_b64 v18, v[12:13]
; %bb.23:                               ;   in Loop: Header=BB9_4 Depth=1
	s_or_b32 exec_lo, exec_lo, s1
	s_mov_b32 s1, 0
.LBB9_24:                               ;   in Loop: Header=BB9_4 Depth=1
	s_delay_alu instid0(SALU_CYCLE_1)
	s_and_not1_b32 vcc_lo, exec_lo, s1
	s_cbranch_vccnz .LBB9_26
; %bb.25:                               ;   in Loop: Header=BB9_4 Depth=1
	ds_store_b64 v18, v[12:13]
.LBB9_26:                               ;   in Loop: Header=BB9_4 Depth=1
	s_or_b32 exec_lo, exec_lo, s14
	v_mov_b32_e32 v3, v20
	s_mov_b32 s1, 0
	s_mov_b32 s14, 8
	s_wait_dscnt 0x0
	; wave barrier
	s_branch .LBB9_28
.LBB9_27:                               ;   in Loop: Header=BB9_28 Depth=2
	v_add_nc_u32_e32 v3, s27, v3
	s_add_co_i32 s14, s14, s16
	s_cmp_eq_u32 s1, s22
	; wave barrier
	s_cbranch_scc1 .LBB9_37
.LBB9_28:                               ;   Parent Loop BB9_4 Depth=1
                                        ; =>  This Loop Header: Depth=2
                                        ;       Child Loop BB9_33 Depth 3
	v_dual_mov_b32 v15, 0 :: v_dual_mov_b32 v14, 0
	s_mul_i32 s15, s1, s22
	s_mov_b32 s17, exec_lo
	v_cmpx_lt_u32_e64 s1, v0
	s_cbranch_execz .LBB9_30
; %bb.29:                               ;   in Loop: Header=BB9_28 Depth=2
	s_lshl_b32 s24, s15, 3
	s_lshl_b32 s25, s1, 3
	s_delay_alu instid0(SALU_CYCLE_1) | instskip(NEXT) | instid1(SALU_CYCLE_1)
	s_add_co_i32 s25, s25, s24
	v_dual_add_nc_u32 v14, s24, v2 :: v_dual_mov_b32 v16, s25
	ds_load_b64 v[14:15], v14
	ds_load_b64 v[16:17], v16
	s_wait_dscnt 0x0
	v_dual_mul_f32 v21, v17, v15 :: v_dual_mul_f32 v22, v16, v15
	s_delay_alu instid0(VALU_DEP_1) | instskip(NEXT) | instid1(VALU_DEP_1)
	v_dual_fma_f32 v15, v16, v14, -v21 :: v_dual_fmac_f32 v22, v17, v14
	v_dual_add_f32 v15, 0, v15 :: v_dual_add_f32 v14, 0, v22
.LBB9_30:                               ;   in Loop: Header=BB9_28 Depth=2
	s_or_b32 exec_lo, exec_lo, s17
	s_add_co_i32 s1, s1, 1
	s_delay_alu instid0(SALU_CYCLE_1)
	s_cmp_ge_i32 s1, s22
	; wave barrier
	s_cbranch_scc1 .LBB9_27
; %bb.31:                               ;   in Loop: Header=BB9_28 Depth=2
	v_lshl_add_u32 v16, s15, 3, v2
	v_mov_b32_e32 v17, v3
	s_mov_b32 s15, s14
	s_mov_b32 s17, s1
	s_branch .LBB9_33
.LBB9_32:                               ;   in Loop: Header=BB9_33 Depth=3
	s_or_b32 exec_lo, exec_lo, s24
	v_add_nc_u32_e32 v17, s27, v17
	s_add_co_i32 s17, s17, 1
	s_add_co_i32 s15, s15, 8
	s_cmp_eq_u32 s22, s17
	; wave barrier
	s_cbranch_scc1 .LBB9_27
.LBB9_33:                               ;   Parent Loop BB9_4 Depth=1
                                        ;     Parent Loop BB9_28 Depth=2
                                        ; =>    This Inner Loop Header: Depth=3
	s_mov_b32 s24, exec_lo
	v_cmpx_eq_u32_e64 s17, v0
	s_cbranch_execz .LBB9_35
; %bb.34:                               ;   in Loop: Header=BB9_33 Depth=3
	ds_load_b64 v[22:23], v18
	v_sub_f32_e32 v24, 0, v15
	s_wait_dscnt 0x0
	v_pk_mul_f32 v[26:27], v[14:15], v[22:23] op_sel:[0,1] op_sel_hi:[0,0]
	s_delay_alu instid0(VALU_DEP_1) | instskip(SKIP_1) | instid1(VALU_DEP_2)
	v_pk_fma_f32 v[28:29], v[24:25], v[22:23], v[26:27] op_sel_hi:[0,1,1] neg_lo:[0,0,1] neg_hi:[0,0,1]
	v_pk_fma_f32 v[22:23], v[24:25], v[22:23], v[26:27]
	v_mov_b32_e32 v23, v29
	ds_store_b64 v16, v[22:23]
.LBB9_35:                               ;   in Loop: Header=BB9_33 Depth=3
	s_or_b32 exec_lo, exec_lo, s24
	s_delay_alu instid0(SALU_CYCLE_1)
	s_mov_b32 s24, exec_lo
	s_wait_dscnt 0x0
	; wave barrier
	v_cmpx_lt_u32_e64 s17, v0
	s_cbranch_execz .LBB9_32
; %bb.36:                               ;   in Loop: Header=BB9_33 Depth=3
	v_mov_b32_e32 v21, s15
	ds_load_b64 v[22:23], v17
	ds_load_b64 v[24:25], v21
	s_wait_dscnt 0x0
	v_dual_mul_f32 v21, v25, v23 :: v_dual_mul_f32 v23, v24, v23
	s_delay_alu instid0(VALU_DEP_1) | instskip(NEXT) | instid1(VALU_DEP_1)
	v_dual_fmac_f32 v23, v25, v22 :: v_dual_fma_f32 v21, v24, v22, -v21
	v_dual_add_f32 v14, v14, v23 :: v_dual_add_f32 v15, v15, v21
	s_branch .LBB9_32
.LBB9_37:                               ;   in Loop: Header=BB9_4 Depth=1
	s_and_saveexec_b32 s1, s0
	s_cbranch_execz .LBB9_2
; %bb.38:                               ;   in Loop: Header=BB9_4 Depth=1
	s_mul_u64 s[14:15], s[10:11], s[2:3]
	s_and_not1_b32 vcc_lo, exec_lo, s20
	s_mov_b32 s17, -1
	s_cbranch_vccnz .LBB9_42
; %bb.39:                               ;   in Loop: Header=BB9_4 Depth=1
	v_add_nc_u64_e32 v[14:15], s[14:15], v[8:9]
	v_mov_b32_e32 v3, v1
	s_mov_b32 s17, 0
	s_mov_b32 s24, s22
.LBB9_40:                               ;   Parent Loop BB9_4 Depth=1
                                        ; =>  This Inner Loop Header: Depth=2
	ds_load_b64 v[16:17], v3
	s_add_co_i32 s24, s24, -1
	v_add_nc_u32_e32 v3, s27, v3
	v_cmp_le_u32_e32 vcc_lo, s24, v0
	s_or_b32 s17, vcc_lo, s17
	s_wait_dscnt 0x0
	global_store_b64 v[14:15], v[16:17], off
	s_wait_xcnt 0x0
	v_add_nc_u64_e32 v[14:15], s[12:13], v[14:15]
	s_and_not1_b32 exec_lo, exec_lo, s17
	s_cbranch_execnz .LBB9_40
; %bb.41:                               ;   in Loop: Header=BB9_4 Depth=1
	s_or_b32 exec_lo, exec_lo, s17
	s_mov_b32 s17, 0
.LBB9_42:                               ;   in Loop: Header=BB9_4 Depth=1
	s_delay_alu instid0(SALU_CYCLE_1)
	s_and_b32 vcc_lo, exec_lo, s17
	s_cbranch_vccz .LBB9_2
; %bb.43:                               ;   in Loop: Header=BB9_4 Depth=1
	v_add_nc_u64_e32 v[14:15], s[14:15], v[10:11]
	v_dual_mov_b32 v3, v2 :: v_dual_mov_b32 v16, v19
	s_mov_b32 s14, 0
.LBB9_44:                               ;   Parent Loop BB9_4 Depth=1
                                        ; =>  This Inner Loop Header: Depth=2
	ds_load_b64 v[22:23], v3
	v_dual_add_nc_u32 v16, -1, v16 :: v_dual_add_nc_u32 v3, s27, v3
	s_delay_alu instid0(VALU_DEP_1)
	v_cmp_eq_u32_e32 vcc_lo, 0, v16
	s_or_b32 s14, vcc_lo, s14
	s_wait_dscnt 0x0
	global_store_b64 v[14:15], v[22:23], off
	s_wait_xcnt 0x0
	v_add_nc_u64_e32 v[14:15], s[8:9], v[14:15]
	s_and_not1_b32 exec_lo, exec_lo, s14
	s_cbranch_execnz .LBB9_44
	s_branch .LBB9_2
.LBB9_45:
	s_endpgm
	.section	.rodata,"a",@progbits
	.p2align	6, 0x0
	.amdhsa_kernel _ZL26rocblas_trtri_small_kernelILi16E19rocblas_complex_numIfEPKS1_PS1_Ev13rocblas_fill_17rocblas_diagonal_iT1_lillT2_lilli
		.amdhsa_group_segment_fixed_size 2048
		.amdhsa_private_segment_fixed_size 0
		.amdhsa_kernarg_size 100
		.amdhsa_user_sgpr_count 2
		.amdhsa_user_sgpr_dispatch_ptr 0
		.amdhsa_user_sgpr_queue_ptr 0
		.amdhsa_user_sgpr_kernarg_segment_ptr 1
		.amdhsa_user_sgpr_dispatch_id 0
		.amdhsa_user_sgpr_kernarg_preload_length 0
		.amdhsa_user_sgpr_kernarg_preload_offset 0
		.amdhsa_user_sgpr_private_segment_size 0
		.amdhsa_wavefront_size32 1
		.amdhsa_uses_dynamic_stack 0
		.amdhsa_enable_private_segment 0
		.amdhsa_system_sgpr_workgroup_id_x 1
		.amdhsa_system_sgpr_workgroup_id_y 0
		.amdhsa_system_sgpr_workgroup_id_z 1
		.amdhsa_system_sgpr_workgroup_info 0
		.amdhsa_system_vgpr_workitem_id 0
		.amdhsa_next_free_vgpr 30
		.amdhsa_next_free_sgpr 40
		.amdhsa_named_barrier_count 0
		.amdhsa_reserve_vcc 1
		.amdhsa_float_round_mode_32 0
		.amdhsa_float_round_mode_16_64 0
		.amdhsa_float_denorm_mode_32 3
		.amdhsa_float_denorm_mode_16_64 3
		.amdhsa_fp16_overflow 0
		.amdhsa_memory_ordered 1
		.amdhsa_forward_progress 1
		.amdhsa_inst_pref_size 14
		.amdhsa_round_robin_scheduling 0
		.amdhsa_exception_fp_ieee_invalid_op 0
		.amdhsa_exception_fp_denorm_src 0
		.amdhsa_exception_fp_ieee_div_zero 0
		.amdhsa_exception_fp_ieee_overflow 0
		.amdhsa_exception_fp_ieee_underflow 0
		.amdhsa_exception_fp_ieee_inexact 0
		.amdhsa_exception_int_div_zero 0
	.end_amdhsa_kernel
	.section	.text._ZL26rocblas_trtri_small_kernelILi16E19rocblas_complex_numIfEPKS1_PS1_Ev13rocblas_fill_17rocblas_diagonal_iT1_lillT2_lilli,"axG",@progbits,_ZL26rocblas_trtri_small_kernelILi16E19rocblas_complex_numIfEPKS1_PS1_Ev13rocblas_fill_17rocblas_diagonal_iT1_lillT2_lilli,comdat
.Lfunc_end9:
	.size	_ZL26rocblas_trtri_small_kernelILi16E19rocblas_complex_numIfEPKS1_PS1_Ev13rocblas_fill_17rocblas_diagonal_iT1_lillT2_lilli, .Lfunc_end9-_ZL26rocblas_trtri_small_kernelILi16E19rocblas_complex_numIfEPKS1_PS1_Ev13rocblas_fill_17rocblas_diagonal_iT1_lillT2_lilli
                                        ; -- End function
	.set _ZL26rocblas_trtri_small_kernelILi16E19rocblas_complex_numIfEPKS1_PS1_Ev13rocblas_fill_17rocblas_diagonal_iT1_lillT2_lilli.num_vgpr, 30
	.set _ZL26rocblas_trtri_small_kernelILi16E19rocblas_complex_numIfEPKS1_PS1_Ev13rocblas_fill_17rocblas_diagonal_iT1_lillT2_lilli.num_agpr, 0
	.set _ZL26rocblas_trtri_small_kernelILi16E19rocblas_complex_numIfEPKS1_PS1_Ev13rocblas_fill_17rocblas_diagonal_iT1_lillT2_lilli.numbered_sgpr, 40
	.set _ZL26rocblas_trtri_small_kernelILi16E19rocblas_complex_numIfEPKS1_PS1_Ev13rocblas_fill_17rocblas_diagonal_iT1_lillT2_lilli.num_named_barrier, 0
	.set _ZL26rocblas_trtri_small_kernelILi16E19rocblas_complex_numIfEPKS1_PS1_Ev13rocblas_fill_17rocblas_diagonal_iT1_lillT2_lilli.private_seg_size, 0
	.set _ZL26rocblas_trtri_small_kernelILi16E19rocblas_complex_numIfEPKS1_PS1_Ev13rocblas_fill_17rocblas_diagonal_iT1_lillT2_lilli.uses_vcc, 1
	.set _ZL26rocblas_trtri_small_kernelILi16E19rocblas_complex_numIfEPKS1_PS1_Ev13rocblas_fill_17rocblas_diagonal_iT1_lillT2_lilli.uses_flat_scratch, 0
	.set _ZL26rocblas_trtri_small_kernelILi16E19rocblas_complex_numIfEPKS1_PS1_Ev13rocblas_fill_17rocblas_diagonal_iT1_lillT2_lilli.has_dyn_sized_stack, 0
	.set _ZL26rocblas_trtri_small_kernelILi16E19rocblas_complex_numIfEPKS1_PS1_Ev13rocblas_fill_17rocblas_diagonal_iT1_lillT2_lilli.has_recursion, 0
	.set _ZL26rocblas_trtri_small_kernelILi16E19rocblas_complex_numIfEPKS1_PS1_Ev13rocblas_fill_17rocblas_diagonal_iT1_lillT2_lilli.has_indirect_call, 0
	.section	.AMDGPU.csdata,"",@progbits
; Kernel info:
; codeLenInByte = 1788
; TotalNumSgprs: 42
; NumVgprs: 30
; ScratchSize: 0
; MemoryBound: 0
; FloatMode: 240
; IeeeMode: 1
; LDSByteSize: 2048 bytes/workgroup (compile time only)
; SGPRBlocks: 0
; VGPRBlocks: 1
; NumSGPRsForWavesPerEU: 42
; NumVGPRsForWavesPerEU: 30
; NamedBarCnt: 0
; Occupancy: 16
; WaveLimiterHint : 0
; COMPUTE_PGM_RSRC2:SCRATCH_EN: 0
; COMPUTE_PGM_RSRC2:USER_SGPR: 2
; COMPUTE_PGM_RSRC2:TRAP_HANDLER: 0
; COMPUTE_PGM_RSRC2:TGID_X_EN: 1
; COMPUTE_PGM_RSRC2:TGID_Y_EN: 0
; COMPUTE_PGM_RSRC2:TGID_Z_EN: 1
; COMPUTE_PGM_RSRC2:TIDIG_COMP_CNT: 0
	.section	.text._ZL29rocblas_trtri_diagonal_kernelILi16E19rocblas_complex_numIfEPKS1_PS1_Ev13rocblas_fill_17rocblas_diagonal_iT1_lillT2_lilli,"axG",@progbits,_ZL29rocblas_trtri_diagonal_kernelILi16E19rocblas_complex_numIfEPKS1_PS1_Ev13rocblas_fill_17rocblas_diagonal_iT1_lillT2_lilli,comdat
	.globl	_ZL29rocblas_trtri_diagonal_kernelILi16E19rocblas_complex_numIfEPKS1_PS1_Ev13rocblas_fill_17rocblas_diagonal_iT1_lillT2_lilli ; -- Begin function _ZL29rocblas_trtri_diagonal_kernelILi16E19rocblas_complex_numIfEPKS1_PS1_Ev13rocblas_fill_17rocblas_diagonal_iT1_lillT2_lilli
	.p2align	8
	.type	_ZL29rocblas_trtri_diagonal_kernelILi16E19rocblas_complex_numIfEPKS1_PS1_Ev13rocblas_fill_17rocblas_diagonal_iT1_lillT2_lilli,@function
_ZL29rocblas_trtri_diagonal_kernelILi16E19rocblas_complex_numIfEPKS1_PS1_Ev13rocblas_fill_17rocblas_diagonal_iT1_lillT2_lilli: ; @_ZL29rocblas_trtri_diagonal_kernelILi16E19rocblas_complex_numIfEPKS1_PS1_Ev13rocblas_fill_17rocblas_diagonal_iT1_lillT2_lilli
; %bb.0:
	s_load_b32 s33, s[0:1], 0x60
	s_bfe_u32 s2, ttmp6, 0x40014
	s_lshr_b32 s3, ttmp7, 16
	s_add_co_i32 s2, s2, 1
	s_bfe_u32 s5, ttmp6, 0x40008
	s_mul_i32 s4, s3, s2
	s_getreg_b32 s2, hwreg(HW_REG_IB_STS2, 6, 4)
	s_add_co_i32 s5, s5, s4
	s_cmp_eq_u32 s2, 0
	s_mov_b32 s25, 0
	s_cselect_b32 s24, s3, s5
	s_wait_kmcnt 0x0
	s_cmp_ge_u32 s24, s33
	s_cbranch_scc1 .LBB10_92
; %bb.1:
	s_clause 0x4
	s_load_b96 s[4:6], s[0:1], 0x0
	s_load_b128 s[20:23], s[0:1], 0x10
	s_load_b32 s34, s[0:1], 0x20
	s_load_b256 s[8:15], s[0:1], 0x28
	s_load_b32 s30, s[0:1], 0x48
	s_bfe_u32 s7, ttmp6, 0x4000c
	s_load_b128 s[16:19], s[0:1], 0x50
	s_add_co_i32 s7, s7, 1
	s_wait_xcnt 0x0
	s_and_b32 s0, ttmp6, 15
	s_mul_i32 s7, ttmp9, s7
	s_mov_b32 s1, s25
	s_add_co_i32 s0, s0, s7
	v_dual_mov_b32 v3, 0 :: v_dual_lshlrev_b32 v2, 3, v0
	v_cvt_f32_ubyte0_e32 v4, v0
	s_mov_b32 s27, s25
	s_mov_b32 s29, s25
	s_delay_alu instid0(VALU_DEP_2)
	v_mov_b32_e32 v5, v3
	s_wait_kmcnt 0x0
	s_ashr_i32 s35, s34, 31
	s_ashr_i32 s3, s6, 31
	;; [unrolled: 1-line block ×3, first 2 shown]
	s_lshr_b32 s3, s3, 27
	s_lshl_b64 s[36:37], s[14:15], 3
	s_add_co_i32 s3, s6, s3
	s_lshl_b64 s[14:15], s[34:35], 5
	s_ashr_i32 s26, s3, 5
	s_add_nc_u64 s[42:43], s[12:13], s[36:37]
	s_cvt_f32_u32 s3, s26
	s_add_nc_u64 s[14:15], s[14:15], 32
	s_delay_alu instid0(SALU_CYCLE_2) | instskip(SKIP_2) | instid1(TRANS32_DEP_1)
	v_rcp_iflag_f32_e32 v1, s3
	s_mov_b32 s3, s25
	v_nop
	v_readfirstlane_b32 s28, v1
	v_mov_b32_e32 v1, v3
	s_mul_f32 s28, s28, 0x4f7ffffe
	s_delay_alu instid0(SALU_CYCLE_3) | instskip(SKIP_1) | instid1(SALU_CYCLE_2)
	s_cvt_u32_f32 s7, s28
	s_sub_co_i32 s28, 0, s26
	s_mul_i32 s28, s28, s7
	s_delay_alu instid0(SALU_CYCLE_1) | instskip(NEXT) | instid1(SALU_CYCLE_1)
	s_mul_hi_u32 s28, s7, s28
	s_add_co_i32 s28, s7, s28
	s_cmp_eq_u32 s2, 0
	s_mov_b32 s7, s25
	s_cselect_b32 s0, ttmp9, s0
	s_delay_alu instid0(SALU_CYCLE_1) | instskip(NEXT) | instid1(SALU_CYCLE_1)
	s_mul_hi_u32 s2, s0, s28
	s_mul_i32 s28, s2, s26
	s_add_co_i32 s38, s2, 1
	s_sub_co_i32 s28, s0, s28
	s_delay_alu instid0(SALU_CYCLE_1)
	s_sub_co_i32 s39, s28, s26
	s_cmp_ge_u32 s28, s26
	s_cselect_b32 s2, s38, s2
	s_cselect_b32 s28, s39, s28
	s_add_co_i32 s38, s2, 1
	s_cmp_ge_u32 s28, s26
	s_cselect_b32 s2, s38, s2
	s_lshl_b64 s[38:39], s[30:31], 5
	s_mul_i32 s26, s2, s26
	s_add_nc_u64 s[40:41], s[38:39], 32
	s_sub_co_i32 s0, s0, s26
	s_mul_u64 s[18:19], s[18:19], s[2:3]
	s_mul_u64 s[46:47], s[10:11], s[2:3]
	;; [unrolled: 1-line block ×3, first 2 shown]
	s_lshl_b32 s10, s0, 4
	s_lshl_b64 s[40:41], s[2:3], 3
	s_sub_co_i32 s2, s6, s10
	s_lshl_b64 s[38:39], s[18:19], 3
	s_min_u32 s26, s2, 16
	s_cmp_lg_u32 s6, s10
	v_cvt_f32_ubyte0_e32 v10, s26
	s_mul_u64 s[18:19], s[14:15], s[0:1]
	s_add_nc_u64 s[0:1], s[42:43], s[40:41]
	s_mul_u64 s[2:3], s[26:27], s[34:35]
	s_cselect_b32 s42, -1, 0
	v_rcp_iflag_f32_e32 v8, v10
	s_lshl_b32 s52, s26, 1
	v_dual_mov_b32 v19, v3 :: v_dual_mov_b32 v6, s26
	s_add_nc_u64 s[48:49], s[2:3], s[26:27]
	v_cmp_gt_u32_e64 s2, s52, v0
	v_cmp_gt_u32_e32 vcc_lo, s26, v0
	s_delay_alu instid0(TRANS32_DEP_1)
	v_mul_f32_e32 v11, v4, v8
	s_cmp_lg_u32 s4, 0x7a
	s_add_nc_u64 s[10:11], s[0:1], s[38:39]
	v_cndmask_b32_e64 v6, s52, v6, s2
	s_cselect_b32 s43, -1, 0
	v_trunc_f32_e32 v11, v11
	s_cmp_lg_u32 s5, 0x84
	s_mul_i32 s0, s26, 3
	v_cndmask_b32_e64 v24, v6, 0, vcc_lo
	s_cselect_b32 s44, -1, 0
	v_fma_f32 v4, -v11, v10, v4
	s_lshl_b64 s[4:5], s[46:47], 3
	s_lshl_b64 s[18:19], s[18:19], 3
	v_cvt_u32_f32_e32 v11, v11
	s_add_nc_u64 s[18:19], s[4:5], s[18:19]
	v_lshlrev_b32_e32 v18, 3, v24
	v_cmp_ge_f32_e64 s4, |v4|, v10
	s_mul_i32 s1, s26, s26
	v_cmp_gt_u32_e64 s0, s0, v0
	v_cmp_gt_u32_e64 s1, s1, v0
	v_cmp_le_u32_e64 s3, s52, v0
	v_add_co_ci_u32_e64 v10, null, 0, v11, s4
	v_sub_nc_u32_e32 v4, v0, v24
	v_cndmask_b32_e64 v9, s49, 0, vcc_lo
	v_cndmask_b32_e64 v8, s48, 0, vcc_lo
	s_delay_alu instid0(VALU_DEP_4)
	v_mul_lo_u16 v6, v10, s26
	v_cndmask_b32_e64 v7, 0, 0x1800, s2
	s_add_co_i32 s6, s26, -1
	s_lshl_b32 s28, s26, 3
	s_lshl_b64 s[46:47], s[6:7], 3
	v_sub_nc_u16 v0, v0, v6
	s_add_co_i32 s45, s26, 1
	v_lshlrev_b64_e32 v[12:13], 3, v[8:9]
	s_lshl_b64 s[22:23], s[22:23], 3
	s_mul_i32 s48, s26, s6
	v_and_b32_e32 v6, 0xffff, v0
	s_mul_u64 s[6:7], s[34:35], s[6:7]
	s_add_nc_u64 s[4:5], s[28:29], s[46:47]
	v_cndmask_b32_e64 v7, v7, 0x1000, vcc_lo
	s_add_nc_u64 s[22:23], s[18:19], s[22:23]
	v_lshlrev_b32_e32 v31, 3, v6
	v_mul_i32_i24_e32 v11, s45, v4
	s_lshl_b64 s[6:7], s[6:7], 3
	s_mul_u64 s[4:5], s[4:5], s[34:35]
	s_add_nc_u64 s[18:19], s[22:23], s[6:7]
	s_add_nc_u64 s[4:5], s[22:23], s[4:5]
	v_and_b32_e32 v0, 0xffff, v10
	v_add_nc_u64_e32 v[8:9], s[4:5], v[2:3]
	v_lshl_add_u32 v32, v11, 3, v7
	v_cmp_gt_u16_e64 s6, 16, v10
	v_add_nc_u64_e32 v[10:11], s[18:19], v[12:13]
	v_lshl_add_u32 v15, s48, 3, v2
	v_add_nc_u64_e32 v[12:13], s[22:23], v[12:13]
	v_add_nc_u32_e32 v14, s26, v4
	v_sub_nc_u64_e32 v[20:21], v[8:9], v[18:19]
	s_mul_u64 s[14:15], s[26:27], s[30:31]
	v_sub_nc_u32_e32 v15, v15, v18
	v_add_nc_u64_e32 v[22:23], v[10:11], v[2:3]
	v_mul_u64_e32 v[8:9], s[30:31], v[0:1]
	s_add_nc_u64 s[50:51], s[14:15], s[26:27]
	s_lshl_b64 s[18:19], s[34:35], 3
	v_add_nc_u64_e32 v[10:11], s[20:21], v[20:21]
	v_dual_add_nc_u32 v1, v7, v15 :: v_dual_ashrrev_i32 v15, 31, v14
	s_delay_alu instid0(VALU_DEP_4)
	v_sub_nc_u64_e32 v[20:21], v[22:23], v[18:19]
	v_add_nc_u64_e32 v[22:23], v[12:13], v[2:3]
	v_cndmask_b32_e64 v17, s51, 0, vcc_lo
	v_cndmask_b32_e64 v16, s50, 0, vcc_lo
	s_add_nc_u64 s[34:35], s[20:21], s[22:23]
	v_add_lshl_u32 v24, v24, s26, 3
	v_lshl_add_u64 v[12:13], v[14:15], 3, s[34:35]
	s_add_nc_u64 s[34:35], s[26:27], -1
	v_add_nc_u64_e32 v[14:15], s[20:21], v[20:21]
	v_sub_nc_u64_e32 v[20:21], v[22:23], v[18:19]
	s_mul_u64 s[34:35], s[34:35], s[30:31]
	v_lshlrev_b64_e32 v[22:23], 3, v[16:17]
	s_lshl_b64 s[34:35], s[34:35], 3
	s_add_nc_u64 s[38:39], s[38:39], s[40:41]
	v_dual_sub_nc_u32 v24, v24, v2 :: v_dual_add_nc_u32 v27, s28, v2
	s_add_nc_u64 s[34:35], s[38:39], s[34:35]
	v_add_nc_u64_e32 v[16:17], s[20:21], v[20:21]
	s_add_nc_u64 s[20:21], s[36:37], s[34:35]
	s_delay_alu instid0(VALU_DEP_2)
	v_add3_u32 v35, v24, v7, -8
	v_add_nc_u64_e32 v[20:21], s[20:21], v[22:23]
	v_dual_sub_nc_u32 v24, v27, v18 :: v_dual_sub_nc_u32 v27, s28, v31
	s_add_nc_u64 s[20:21], s[36:37], s[38:39]
	v_mul_u32_u24_e32 v25, s26, v0
	v_add_nc_u64_e32 v[22:23], s[20:21], v[22:23]
	s_delay_alu instid0(VALU_DEP_3)
	v_dual_add_nc_u32 v36, v7, v24 :: v_dual_bitop2_b32 v37, 8, v7 bitop3:0x54
	v_mul_lo_u32 v24, s26, v27
	v_add_nc_u64_e32 v[20:21], v[20:21], v[2:3]
	v_dual_lshlrev_b32 v33, 7, v0 :: v_dual_add_nc_u32 v26, s26, v6
	v_dual_add_nc_u32 v39, -1, v0 :: v_dual_lshlrev_b32 v2, 3, v25
	s_movk_i32 s7, 0x88
	v_lshl_add_u32 v30, v4, 3, v7
	s_delay_alu instid0(VALU_DEP_4) | instskip(SKIP_4) | instid1(VALU_DEP_4)
	v_sub_nc_u64_e32 v[18:19], v[20:21], v[18:19]
	v_lshl_add_u64 v[20:21], v[4:5], 3, v[22:23]
	v_mov_b64_e32 v[22:23], 0x3f800000
	v_dual_sub_nc_u32 v24, v24, v31 :: v_dual_add_nc_u32 v41, v33, v31
	v_cmp_gt_i32_e64 s4, s26, v4
	v_add_nc_u64_e32 v[20:21], s[12:13], v[20:21]
	v_add_nc_u64_e32 v[18:19], s[12:13], v[18:19]
	v_cmp_lt_i32_e64 s5, -1, v4
	v_add_nc_u32_e32 v34, 0x800, v31
	v_sub_nc_u32_e32 v38, 0x1ff8, v33
	v_mad_u32_u24 v40, v0, s7, 0x1000
	v_dual_add_nc_u32 v42, -1, v6 :: v_dual_add_nc_u32 v46, 1, v4
	v_add3_u32 v43, v2, v31, 0x800
	v_add_nc_u32_e32 v44, 0xff8, v24
	v_add_nc_u32_e32 v5, 0x800, v2
	;; [unrolled: 1-line block ×3, first 2 shown]
	v_lshlrev_b32_e32 v24, 3, v6
	v_lshlrev_b32_e32 v2, 3, v26
	s_lshl_b64 s[12:13], s[30:31], 3
	s_sub_co_i32 s29, 0, s28
	s_lshl_b64 s[8:9], s[8:9], 3
	s_sub_nc_u64 s[22:23], 0, s[18:19]
	s_add_co_i32 s27, s28, 8
	s_lshl_b64 s[20:21], s[16:17], 3
	s_sub_nc_u64 s[30:31], 0, s[12:13]
	s_branch .LBB10_4
.LBB10_2:                               ;   in Loop: Header=BB10_4 Depth=1
	s_or_b32 exec_lo, exec_lo, s7
.LBB10_3:                               ;   in Loop: Header=BB10_4 Depth=1
	s_add_co_i32 s24, s24, 0x10000
	s_delay_alu instid0(SALU_CYCLE_1)
	s_cmp_lt_u32 s24, s33
	s_cbranch_scc0 .LBB10_92
.LBB10_4:                               ; =>This Loop Header: Depth=1
                                        ;     Child Loop BB10_9 Depth 2
                                        ;     Child Loop BB10_13 Depth 2
	;; [unrolled: 1-line block ×5, first 2 shown]
                                        ;       Child Loop BB10_48 Depth 3
                                        ;     Child Loop BB10_55 Depth 2
                                        ;     Child Loop BB10_62 Depth 2
	;; [unrolled: 1-line block ×6, first 2 shown]
	s_and_not1_b32 vcc_lo, exec_lo, s42
	s_cbranch_vccnz .LBB10_3
; %bb.5:                                ;   in Loop: Header=BB10_4 Depth=1
	s_mul_u64 s[34:35], s[8:9], s[24:25]
	s_and_saveexec_b32 s7, s3
	s_delay_alu instid0(SALU_CYCLE_1)
	s_xor_b32 s7, exec_lo, s7
	s_cbranch_execz .LBB10_15
; %bb.6:                                ;   in Loop: Header=BB10_4 Depth=1
	s_and_saveexec_b32 s36, s0
	s_cbranch_execz .LBB10_14
; %bb.7:                                ;   in Loop: Header=BB10_4 Depth=1
	s_and_not1_b32 vcc_lo, exec_lo, s43
	s_mov_b32 s37, -1
	s_cbranch_vccnz .LBB10_11
; %bb.8:                                ;   in Loop: Header=BB10_4 Depth=1
	v_add_nc_u64_e32 v[26:27], s[34:35], v[10:11]
	v_mov_b32_e32 v25, v1
	s_mov_b32 s37, s45
.LBB10_9:                               ;   Parent Loop BB10_4 Depth=1
                                        ; =>  This Inner Loop Header: Depth=2
	global_load_b64 v[28:29], v[26:27], off
	s_wait_xcnt 0x0
	v_add_nc_u64_e32 v[26:27], s[22:23], v[26:27]
	s_add_co_i32 s37, s37, -1
	s_delay_alu instid0(SALU_CYCLE_1)
	s_cmp_gt_u32 s37, 1
	s_wait_loadcnt 0x0
	ds_store_b64 v25, v[28:29]
	v_add_nc_u32_e32 v25, s29, v25
	s_cbranch_scc1 .LBB10_9
; %bb.10:                               ;   in Loop: Header=BB10_4 Depth=1
	s_mov_b32 s37, 0
.LBB10_11:                              ;   in Loop: Header=BB10_4 Depth=1
	s_delay_alu instid0(SALU_CYCLE_1)
	s_and_b32 vcc_lo, exec_lo, s37
	s_cbranch_vccz .LBB10_14
; %bb.12:                               ;   in Loop: Header=BB10_4 Depth=1
	v_add_nc_u64_e32 v[26:27], s[34:35], v[12:13]
	v_mov_b32_e32 v25, v30
	s_mov_b32 s37, s26
.LBB10_13:                              ;   Parent Loop BB10_4 Depth=1
                                        ; =>  This Inner Loop Header: Depth=2
	global_load_b64 v[28:29], v[26:27], off
	s_wait_xcnt 0x0
	v_add_nc_u64_e32 v[26:27], s[18:19], v[26:27]
	s_add_co_i32 s37, s37, -1
	s_delay_alu instid0(SALU_CYCLE_1)
	s_cmp_eq_u32 s37, 0
	s_wait_loadcnt 0x0
	ds_store_b64 v25, v[28:29]
	v_add_nc_u32_e32 v25, s28, v25
	s_cbranch_scc0 .LBB10_13
.LBB10_14:                              ;   in Loop: Header=BB10_4 Depth=1
	s_or_b32 exec_lo, exec_lo, s36
.LBB10_15:                              ;   in Loop: Header=BB10_4 Depth=1
	s_and_not1_saveexec_b32 s7, s7
	s_cbranch_execz .LBB10_27
; %bb.16:                               ;   in Loop: Header=BB10_4 Depth=1
	s_and_b32 vcc_lo, exec_lo, s43
	s_mov_b32 s36, -1
	s_cbranch_vccz .LBB10_22
; %bb.17:                               ;   in Loop: Header=BB10_4 Depth=1
	v_add_nc_u64_e32 v[26:27], s[34:35], v[14:15]
	v_mov_b32_e32 v25, v35
	s_mov_b32 s36, s26
	s_branch .LBB10_19
.LBB10_18:                              ;   in Loop: Header=BB10_19 Depth=2
	s_wait_xcnt 0x0
	s_or_b32 exec_lo, exec_lo, s37
	v_add_nc_u64_e32 v[26:27], s[22:23], v[26:27]
	s_wait_loadcnt 0x0
	ds_store_b64 v25, v[28:29]
	v_add_nc_u32_e32 v25, s28, v25
	s_cmp_lt_i32 s36, 1
	s_cbranch_scc1 .LBB10_21
.LBB10_19:                              ;   Parent Loop BB10_4 Depth=1
                                        ; =>  This Inner Loop Header: Depth=2
	v_dual_mov_b32 v28, 0 :: v_dual_mov_b32 v29, 0
	s_add_co_i32 s36, s36, -1
	s_mov_b32 s37, exec_lo
	v_cmpx_ge_i32_e64 s36, v4
	s_cbranch_execz .LBB10_18
; %bb.20:                               ;   in Loop: Header=BB10_19 Depth=2
	global_load_b64 v[28:29], v[26:27], off
	s_branch .LBB10_18
.LBB10_21:                              ;   in Loop: Header=BB10_4 Depth=1
	s_mov_b32 s36, 0
.LBB10_22:                              ;   in Loop: Header=BB10_4 Depth=1
	s_delay_alu instid0(SALU_CYCLE_1)
	s_and_b32 vcc_lo, exec_lo, s36
	s_cbranch_vccz .LBB10_27
; %bb.23:                               ;   in Loop: Header=BB10_4 Depth=1
	v_add_nc_u64_e32 v[26:27], s[34:35], v[16:17]
	v_mov_b32_e32 v25, v30
	s_mov_b32 s34, 0
	s_branch .LBB10_25
.LBB10_24:                              ;   in Loop: Header=BB10_25 Depth=2
	s_wait_xcnt 0x0
	s_or_b32 exec_lo, exec_lo, s35
	v_add_nc_u64_e32 v[26:27], s[18:19], v[26:27]
	s_wait_loadcnt 0x0
	ds_store_b64 v25, v[28:29]
	v_add_nc_u32_e32 v25, s28, v25
	s_add_co_i32 s34, s34, 1
	s_delay_alu instid0(SALU_CYCLE_1)
	s_cmp_eq_u32 s26, s34
	s_cbranch_scc1 .LBB10_27
.LBB10_25:                              ;   Parent Loop BB10_4 Depth=1
                                        ; =>  This Inner Loop Header: Depth=2
	v_dual_mov_b32 v28, 0 :: v_dual_mov_b32 v29, 0
	s_mov_b32 s35, exec_lo
	v_cmpx_le_i32_e64 s34, v4
	s_cbranch_execz .LBB10_24
; %bb.26:                               ;   in Loop: Header=BB10_25 Depth=2
	global_load_b64 v[28:29], v[26:27], off
	s_branch .LBB10_24
.LBB10_27:                              ;   in Loop: Header=BB10_4 Depth=1
	s_or_b32 exec_lo, exec_lo, s7
	s_wait_dscnt 0x0
	s_barrier_signal -1
	s_barrier_wait -1
	s_and_saveexec_b32 s34, s2
	s_cbranch_execz .LBB10_40
; %bb.28:                               ;   in Loop: Header=BB10_4 Depth=1
	s_and_b32 vcc_lo, exec_lo, s44
	s_mov_b32 s7, -1
	s_cbranch_vccz .LBB10_38
; %bb.29:                               ;   in Loop: Header=BB10_4 Depth=1
	ds_load_b64 v[26:27], v32
	s_wait_dscnt 0x0
	v_cmp_neq_f32_e32 vcc_lo, 0, v26
	v_cmp_neq_f32_e64 s7, 0, v27
	s_or_b32 s7, vcc_lo, s7
	s_delay_alu instid0(SALU_CYCLE_1) | instskip(NEXT) | instid1(SALU_CYCLE_1)
	s_and_saveexec_b32 s35, s7
	s_xor_b32 s7, exec_lo, s35
	s_cbranch_execz .LBB10_35
; %bb.30:                               ;   in Loop: Header=BB10_4 Depth=1
	v_cmp_ngt_f32_e64 s35, |v26|, |v27|
                                        ; implicit-def: $vgpr28_vgpr29
	s_and_saveexec_b32 s36, s35
	s_delay_alu instid0(SALU_CYCLE_1)
	s_xor_b32 s35, exec_lo, s36
	s_cbranch_execz .LBB10_32
; %bb.31:                               ;   in Loop: Header=BB10_4 Depth=1
	v_div_scale_f32 v25, null, v27, v27, v26
	v_div_scale_f32 v47, vcc_lo, v26, v27, v26
	s_delay_alu instid0(VALU_DEP_2) | instskip(SKIP_1) | instid1(TRANS32_DEP_1)
	v_rcp_f32_e32 v28, v25
	v_nop
	v_fma_f32 v29, -v25, v28, 1.0
	s_delay_alu instid0(VALU_DEP_1) | instskip(NEXT) | instid1(VALU_DEP_1)
	v_fmac_f32_e32 v28, v29, v28
	v_mul_f32_e32 v29, v47, v28
	s_delay_alu instid0(VALU_DEP_1) | instskip(NEXT) | instid1(VALU_DEP_1)
	v_fma_f32 v48, -v25, v29, v47
	v_fmac_f32_e32 v29, v48, v28
	s_delay_alu instid0(VALU_DEP_1) | instskip(NEXT) | instid1(VALU_DEP_1)
	v_fma_f32 v25, -v25, v29, v47
	v_div_fmas_f32 v25, v25, v28, v29
	s_delay_alu instid0(VALU_DEP_1) | instskip(NEXT) | instid1(VALU_DEP_1)
	v_div_fixup_f32 v25, v25, v27, v26
	v_fmac_f32_e32 v27, v26, v25
	s_delay_alu instid0(VALU_DEP_1) | instskip(SKIP_1) | instid1(VALU_DEP_2)
	v_div_scale_f32 v26, null, v27, v27, 1.0
	v_div_scale_f32 v47, vcc_lo, 1.0, v27, 1.0
	v_rcp_f32_e32 v28, v26
	v_nop
	s_delay_alu instid0(TRANS32_DEP_1) | instskip(NEXT) | instid1(VALU_DEP_1)
	v_fma_f32 v29, -v26, v28, 1.0
	v_fmac_f32_e32 v28, v29, v28
	s_delay_alu instid0(VALU_DEP_1) | instskip(NEXT) | instid1(VALU_DEP_1)
	v_mul_f32_e32 v29, v47, v28
	v_fma_f32 v48, -v26, v29, v47
	s_delay_alu instid0(VALU_DEP_1) | instskip(NEXT) | instid1(VALU_DEP_1)
	v_fmac_f32_e32 v29, v48, v28
	v_fma_f32 v26, -v26, v29, v47
	s_delay_alu instid0(VALU_DEP_1) | instskip(NEXT) | instid1(VALU_DEP_1)
	v_div_fmas_f32 v26, v26, v28, v29
	v_div_fixup_f32 v26, v26, v27, 1.0
	s_delay_alu instid0(VALU_DEP_1)
	v_mul_f32_e32 v28, v25, v26
	v_xor_b32_e32 v29, 0x80000000, v26
                                        ; implicit-def: $vgpr26_vgpr27
.LBB10_32:                              ;   in Loop: Header=BB10_4 Depth=1
	s_and_not1_saveexec_b32 s35, s35
	s_cbranch_execz .LBB10_34
; %bb.33:                               ;   in Loop: Header=BB10_4 Depth=1
	v_div_scale_f32 v25, null, v26, v26, v27
	v_div_scale_f32 v47, vcc_lo, v27, v26, v27
	s_delay_alu instid0(VALU_DEP_2) | instskip(SKIP_1) | instid1(TRANS32_DEP_1)
	v_rcp_f32_e32 v28, v25
	v_nop
	v_fma_f32 v29, -v25, v28, 1.0
	s_delay_alu instid0(VALU_DEP_1) | instskip(NEXT) | instid1(VALU_DEP_1)
	v_fmac_f32_e32 v28, v29, v28
	v_mul_f32_e32 v29, v47, v28
	s_delay_alu instid0(VALU_DEP_1) | instskip(NEXT) | instid1(VALU_DEP_1)
	v_fma_f32 v48, -v25, v29, v47
	v_fmac_f32_e32 v29, v48, v28
	s_delay_alu instid0(VALU_DEP_1) | instskip(NEXT) | instid1(VALU_DEP_1)
	v_fma_f32 v25, -v25, v29, v47
	v_div_fmas_f32 v25, v25, v28, v29
	s_delay_alu instid0(VALU_DEP_1) | instskip(NEXT) | instid1(VALU_DEP_1)
	v_div_fixup_f32 v25, v25, v26, v27
	v_fmac_f32_e32 v26, v27, v25
	s_delay_alu instid0(VALU_DEP_1) | instskip(NEXT) | instid1(VALU_DEP_1)
	v_div_scale_f32 v27, null, v26, v26, 1.0
	v_rcp_f32_e32 v28, v27
	v_nop
	s_delay_alu instid0(TRANS32_DEP_1) | instskip(NEXT) | instid1(VALU_DEP_1)
	v_fma_f32 v29, -v27, v28, 1.0
	v_fmac_f32_e32 v28, v29, v28
	v_div_scale_f32 v29, vcc_lo, 1.0, v26, 1.0
	s_delay_alu instid0(VALU_DEP_1) | instskip(NEXT) | instid1(VALU_DEP_1)
	v_mul_f32_e32 v47, v29, v28
	v_fma_f32 v48, -v27, v47, v29
	s_delay_alu instid0(VALU_DEP_1) | instskip(NEXT) | instid1(VALU_DEP_1)
	v_fmac_f32_e32 v47, v48, v28
	v_fma_f32 v27, -v27, v47, v29
	s_delay_alu instid0(VALU_DEP_1) | instskip(NEXT) | instid1(VALU_DEP_1)
	v_div_fmas_f32 v27, v27, v28, v47
	v_div_fixup_f32 v28, v27, v26, 1.0
	s_delay_alu instid0(VALU_DEP_1)
	v_mul_f32_e64 v29, v25, -v28
.LBB10_34:                              ;   in Loop: Header=BB10_4 Depth=1
	s_or_b32 exec_lo, exec_lo, s35
	ds_store_b64 v32, v[28:29]
.LBB10_35:                              ;   in Loop: Header=BB10_4 Depth=1
	s_and_not1_saveexec_b32 s7, s7
; %bb.36:                               ;   in Loop: Header=BB10_4 Depth=1
	ds_store_b64 v32, v[22:23]
; %bb.37:                               ;   in Loop: Header=BB10_4 Depth=1
	s_or_b32 exec_lo, exec_lo, s7
	s_mov_b32 s7, 0
.LBB10_38:                              ;   in Loop: Header=BB10_4 Depth=1
	s_delay_alu instid0(SALU_CYCLE_1)
	s_and_not1_b32 vcc_lo, exec_lo, s7
	s_cbranch_vccnz .LBB10_40
; %bb.39:                               ;   in Loop: Header=BB10_4 Depth=1
	ds_store_b64 v32, v[22:23]
.LBB10_40:                              ;   in Loop: Header=BB10_4 Depth=1
	s_or_b32 exec_lo, exec_lo, s34
	s_wait_dscnt 0x0
	s_barrier_signal -1
	s_barrier_wait -1
	s_and_saveexec_b32 s7, s2
	s_cbranch_execz .LBB10_52
; %bb.41:                               ;   in Loop: Header=BB10_4 Depth=1
	v_dual_mov_b32 v25, v37 :: v_dual_mov_b32 v27, v36
	s_mov_b32 s34, 0
	s_branch .LBB10_43
.LBB10_42:                              ;   in Loop: Header=BB10_43 Depth=2
	v_dual_add_nc_u32 v27, s28, v27 :: v_dual_add_nc_u32 v25, s27, v25
	s_cmp_eq_u32 s34, s26
	s_cbranch_scc1 .LBB10_52
.LBB10_43:                              ;   Parent Loop BB10_4 Depth=1
                                        ; =>  This Loop Header: Depth=2
                                        ;       Child Loop BB10_48 Depth 3
	v_dual_mov_b32 v28, 0 :: v_dual_mov_b32 v26, 0
	s_mul_i32 s35, s34, s26
	s_mov_b32 s36, exec_lo
	v_cmpx_lt_i32_e64 s34, v4
	s_cbranch_execz .LBB10_45
; %bb.44:                               ;   in Loop: Header=BB10_43 Depth=2
	s_lshl_b32 s37, s35, 3
	s_lshl_b32 s38, s34, 3
	v_add_nc_u32_e32 v26, s37, v30
	v_add3_u32 v47, s37, s38, v7
	ds_load_b64 v[28:29], v26
	ds_load_b64 v[48:49], v47
	s_wait_dscnt 0x0
	v_dual_mul_f32 v26, v49, v29 :: v_dual_mul_f32 v29, v48, v29
	s_delay_alu instid0(VALU_DEP_1) | instskip(NEXT) | instid1(VALU_DEP_1)
	v_dual_fmac_f32 v29, v49, v28 :: v_dual_fma_f32 v26, v48, v28, -v26
	v_dual_add_f32 v28, 0, v26 :: v_dual_add_f32 v26, 0, v29
.LBB10_45:                              ;   in Loop: Header=BB10_43 Depth=2
	s_or_b32 exec_lo, exec_lo, s36
	s_add_co_i32 s34, s34, 1
	s_delay_alu instid0(SALU_CYCLE_1)
	s_cmp_ge_u32 s34, s26
	s_cbranch_scc1 .LBB10_42
; %bb.46:                               ;   in Loop: Header=BB10_43 Depth=2
	v_lshl_add_u32 v29, s35, 3, v30
	v_dual_mov_b32 v47, v25 :: v_dual_mov_b32 v48, v27
	s_mov_b32 s35, s34
	s_branch .LBB10_48
.LBB10_47:                              ;   in Loop: Header=BB10_48 Depth=3
	s_or_b32 exec_lo, exec_lo, s36
	v_dual_add_nc_u32 v48, s28, v48 :: v_dual_add_nc_u32 v47, 8, v47
	s_add_co_i32 s35, s35, 1
	s_delay_alu instid0(SALU_CYCLE_1)
	s_cmp_eq_u32 s26, s35
	s_cbranch_scc1 .LBB10_42
.LBB10_48:                              ;   Parent Loop BB10_4 Depth=1
                                        ;     Parent Loop BB10_43 Depth=2
                                        ; =>    This Inner Loop Header: Depth=3
	s_mov_b32 s36, exec_lo
	v_cmpx_eq_u32_e64 s35, v4
	s_cbranch_execz .LBB10_50
; %bb.49:                               ;   in Loop: Header=BB10_48 Depth=3
	ds_load_b64 v[50:51], v32
	v_sub_f32_e32 v52, 0, v28
	s_wait_dscnt 0x0
	v_pk_mul_f32 v[54:55], v[26:27], v[50:51] op_sel:[0,1] op_sel_hi:[0,0]
	s_delay_alu instid0(VALU_DEP_1) | instskip(SKIP_1) | instid1(VALU_DEP_2)
	v_pk_fma_f32 v[56:57], v[52:53], v[50:51], v[54:55] op_sel_hi:[0,1,1] neg_lo:[0,0,1] neg_hi:[0,0,1]
	v_pk_fma_f32 v[50:51], v[52:53], v[50:51], v[54:55]
	v_mov_b32_e32 v51, v57
	ds_store_b64 v29, v[50:51]
.LBB10_50:                              ;   in Loop: Header=BB10_48 Depth=3
	s_or_b32 exec_lo, exec_lo, s36
	s_delay_alu instid0(SALU_CYCLE_1)
	s_mov_b32 s36, exec_lo
	v_cmpx_lt_i32_e64 s35, v4
	s_cbranch_execz .LBB10_47
; %bb.51:                               ;   in Loop: Header=BB10_48 Depth=3
	ds_load_b64 v[50:51], v48
	ds_load_b64 v[52:53], v47
	s_wait_dscnt 0x0
	v_dual_mul_f32 v49, v53, v51 :: v_dual_mul_f32 v51, v52, v51
	s_delay_alu instid0(VALU_DEP_1) | instskip(NEXT) | instid1(VALU_DEP_1)
	v_dual_fma_f32 v49, v52, v50, -v49 :: v_dual_fmac_f32 v51, v53, v50
	v_dual_add_f32 v28, v28, v49 :: v_dual_add_f32 v26, v26, v51
	s_branch .LBB10_47
.LBB10_52:                              ;   in Loop: Header=BB10_4 Depth=1
	s_or_b32 exec_lo, exec_lo, s7
	s_delay_alu instid0(SALU_CYCLE_1)
	s_and_b32 vcc_lo, exec_lo, s43
	s_wait_dscnt 0x0
	s_barrier_signal -1
	s_barrier_wait -1
	s_cbranch_vccz .LBB10_58
; %bb.53:                               ;   in Loop: Header=BB10_4 Depth=1
	s_mov_b32 s34, 0
	s_mov_b32 s7, 0
                                        ; implicit-def: $vgpr25
	s_and_saveexec_b32 s35, s1
	s_cbranch_execz .LBB10_57
; %bb.54:                               ;   in Loop: Header=BB10_4 Depth=1
	v_dual_mov_b32 v25, 0 :: v_dual_mov_b32 v27, v31
	v_dual_mov_b32 v28, v38 :: v_dual_mov_b32 v26, 0
	s_mov_b32 s36, -1
.LBB10_55:                              ;   Parent Loop BB10_4 Depth=1
                                        ; =>  This Inner Loop Header: Depth=2
	ds_load_b64 v[48:49], v27
	ds_load_b64 v[50:51], v28
	s_add_co_i32 s36, s36, 1
	v_add_nc_u32_e32 v27, 0x80, v27
	v_cmp_ge_u32_e32 vcc_lo, s36, v0
	s_or_b32 s7, vcc_lo, s7
	s_wait_dscnt 0x0
	v_dual_mul_f32 v29, v51, v49 :: v_dual_mul_f32 v47, v50, v49
	s_delay_alu instid0(VALU_DEP_1) | instskip(NEXT) | instid1(VALU_DEP_1)
	v_dual_fma_f32 v29, v50, v48, -v29 :: v_dual_fmac_f32 v47, v51, v48
	v_dual_add_nc_u32 v28, -8, v28 :: v_dual_add_f32 v26, v26, v29
	s_delay_alu instid0(VALU_DEP_2)
	v_add_f32_e32 v25, v25, v47
	s_and_not1_b32 exec_lo, exec_lo, s7
	s_cbranch_execnz .LBB10_55
; %bb.56:                               ;   in Loop: Header=BB10_4 Depth=1
	s_or_b32 exec_lo, exec_lo, s7
	v_add_nc_u32_e32 v27, v34, v33
	s_mov_b32 s7, exec_lo
	ds_store_b32 v27, v26
.LBB10_57:                              ;   in Loop: Header=BB10_4 Depth=1
	s_or_b32 exec_lo, exec_lo, s35
	s_delay_alu instid0(SALU_CYCLE_1)
	s_and_b32 vcc_lo, exec_lo, s34
	s_cbranch_vccnz .LBB10_59
	s_branch .LBB10_66
.LBB10_58:                              ;   in Loop: Header=BB10_4 Depth=1
	s_mov_b32 s7, 0
                                        ; implicit-def: $vgpr25
	s_cbranch_execz .LBB10_66
.LBB10_59:                              ;   in Loop: Header=BB10_4 Depth=1
                                        ; implicit-def: $vgpr25
	s_and_saveexec_b32 s34, s1
	s_cbranch_execz .LBB10_65
; %bb.60:                               ;   in Loop: Header=BB10_4 Depth=1
	v_dual_mov_b32 v25, 0 :: v_dual_mov_b32 v26, 0
	s_and_saveexec_b32 s35, s6
	s_cbranch_execz .LBB10_64
; %bb.61:                               ;   in Loop: Header=BB10_4 Depth=1
	v_dual_mov_b32 v25, 0 :: v_dual_mov_b32 v27, v41
	v_dual_mov_b32 v28, v40 :: v_dual_mov_b32 v29, v39
	v_mov_b32_e32 v26, 0
	s_mov_b32 s36, 0
.LBB10_62:                              ;   Parent Loop BB10_4 Depth=1
                                        ; =>  This Inner Loop Header: Depth=2
	ds_load_b64 v[48:49], v27
	ds_load_b64 v[50:51], v28
	v_add_nc_u32_e32 v27, 0x80, v27
	s_wait_dscnt 0x0
	v_dual_mul_f32 v47, v51, v49 :: v_dual_mul_f32 v49, v50, v49
	s_delay_alu instid0(VALU_DEP_1) | instskip(NEXT) | instid1(VALU_DEP_2)
	v_dual_add_nc_u32 v29, 1, v29 :: v_dual_fma_f32 v47, v50, v48, -v47
	v_fmac_f32_e32 v49, v51, v48
	s_delay_alu instid0(VALU_DEP_2) | instskip(NEXT) | instid1(VALU_DEP_3)
	v_cmp_lt_u32_e32 vcc_lo, 14, v29
	v_dual_add_f32 v26, v26, v47 :: v_dual_add_nc_u32 v28, 8, v28
	s_delay_alu instid0(VALU_DEP_3) | instskip(SKIP_1) | instid1(SALU_CYCLE_1)
	v_add_f32_e32 v25, v25, v49
	s_or_b32 s36, vcc_lo, s36
	s_and_not1_b32 exec_lo, exec_lo, s36
	s_cbranch_execnz .LBB10_62
; %bb.63:                               ;   in Loop: Header=BB10_4 Depth=1
	s_or_b32 exec_lo, exec_lo, s36
.LBB10_64:                              ;   in Loop: Header=BB10_4 Depth=1
	s_delay_alu instid0(SALU_CYCLE_1)
	s_or_b32 exec_lo, exec_lo, s35
	v_add_nc_u32_e32 v27, v34, v33
	s_or_b32 s7, s7, exec_lo
	ds_store_b32 v27, v26
.LBB10_65:                              ;   in Loop: Header=BB10_4 Depth=1
	s_or_b32 exec_lo, exec_lo, s34
.LBB10_66:                              ;   in Loop: Header=BB10_4 Depth=1
	s_and_saveexec_b32 s34, s7
; %bb.67:                               ;   in Loop: Header=BB10_4 Depth=1
	v_add_nc_u32_e32 v26, v34, v33
	ds_store_b32 v26, v25 offset:4
; %bb.68:                               ;   in Loop: Header=BB10_4 Depth=1
	s_or_b32 exec_lo, exec_lo, s34
	s_mul_u64 s[34:35], s[16:17], s[24:25]
	s_and_b32 vcc_lo, exec_lo, s43
	s_lshl_b64 s[34:35], s[34:35], 3
	s_wait_dscnt 0x0
	s_add_nc_u64 s[34:35], s[10:11], s[34:35]
	s_barrier_signal -1
	s_barrier_wait -1
	s_cbranch_vccz .LBB10_74
; %bb.69:                               ;   in Loop: Header=BB10_4 Depth=1
	s_mov_b32 s36, 0
	s_mov_b32 s7, 0
                                        ; implicit-def: $vgpr27
                                        ; implicit-def: $vgpr28_vgpr29
	s_and_saveexec_b32 s37, s1
	s_cbranch_execz .LBB10_73
; %bb.70:                               ;   in Loop: Header=BB10_4 Depth=1
	v_dual_mov_b32 v26, 0 :: v_dual_mov_b32 v25, v44
	v_dual_mov_b32 v28, v43 :: v_dual_mov_b32 v29, v42
	s_delay_alu instid0(VALU_DEP_2)
	v_mov_b32_e32 v27, v26
.LBB10_71:                              ;   Parent Loop BB10_4 Depth=1
                                        ; =>  This Inner Loop Header: Depth=2
	ds_load_b64 v[48:49], v25
	ds_load_b64 v[50:51], v28
	v_dual_add_nc_u32 v29, 1, v29 :: v_dual_add_nc_u32 v28, 8, v28
	v_add_nc_u32_e32 v25, s29, v25
	s_delay_alu instid0(VALU_DEP_2) | instskip(SKIP_3) | instid1(VALU_DEP_1)
	v_cmp_lt_u32_e32 vcc_lo, 14, v29
	s_or_b32 s7, vcc_lo, s7
	s_wait_dscnt 0x0
	v_pk_mul_f32 v[52:53], v[50:51], v[48:49] op_sel:[0,1] neg_lo:[0,1]
	v_pk_fma_f32 v[48:49], v[48:49], v[50:51], v[52:53] op_sel:[0,0,1] op_sel_hi:[0,1,0] neg_lo:[1,0,0] neg_hi:[1,0,0]
	s_delay_alu instid0(VALU_DEP_1)
	v_pk_add_f32 v[26:27], v[26:27], v[48:49]
	s_and_not1_b32 exec_lo, exec_lo, s7
	s_cbranch_execnz .LBB10_71
; %bb.72:                               ;   in Loop: Header=BB10_4 Depth=1
	s_or_b32 exec_lo, exec_lo, s7
	v_mov_b32_e32 v25, v3
	s_lshl_b64 s[38:39], s[14:15], 3
	s_mov_b32 s7, exec_lo
	s_add_nc_u64 s[38:39], s[34:35], s[38:39]
	s_delay_alu instid0(VALU_DEP_1) | instid1(SALU_CYCLE_1)
	v_add_nc_u64_e32 v[28:29], s[38:39], v[24:25]
	s_delay_alu instid0(VALU_DEP_1)
	v_lshl_add_u64 v[28:29], v[8:9], 3, v[28:29]
	global_store_b32 v[28:29], v26, off
.LBB10_73:                              ;   in Loop: Header=BB10_4 Depth=1
	s_wait_xcnt 0x0
	s_or_b32 exec_lo, exec_lo, s37
	s_delay_alu instid0(SALU_CYCLE_1)
	s_and_b32 vcc_lo, exec_lo, s36
	s_cbranch_vccnz .LBB10_75
	s_branch .LBB10_80
.LBB10_74:                              ;   in Loop: Header=BB10_4 Depth=1
	s_mov_b32 s7, 0
                                        ; implicit-def: $vgpr27
                                        ; implicit-def: $vgpr28_vgpr29
	s_cbranch_execz .LBB10_80
.LBB10_75:                              ;   in Loop: Header=BB10_4 Depth=1
                                        ; implicit-def: $vgpr27
                                        ; implicit-def: $vgpr28_vgpr29
	s_and_saveexec_b32 s36, s1
	s_cbranch_execz .LBB10_79
; %bb.76:                               ;   in Loop: Header=BB10_4 Depth=1
	v_dual_mov_b32 v26, 0 :: v_dual_mov_b32 v25, v45
	v_mov_b32_e32 v28, v5
	s_mov_b32 s38, -1
	s_mov_b32 s37, 0
	s_delay_alu instid0(VALU_DEP_2)
	v_mov_b32_e32 v27, v26
.LBB10_77:                              ;   Parent Loop BB10_4 Depth=1
                                        ; =>  This Inner Loop Header: Depth=2
	ds_load_b64 v[48:49], v25
	ds_load_b64 v[50:51], v28
	s_add_co_i32 s38, s38, 1
	v_dual_add_nc_u32 v28, 8, v28 :: v_dual_add_nc_u32 v25, s28, v25
	v_cmp_ge_u32_e32 vcc_lo, s38, v6
	s_or_b32 s37, vcc_lo, s37
	s_wait_dscnt 0x0
	v_pk_mul_f32 v[52:53], v[50:51], v[48:49] op_sel:[0,1] neg_lo:[0,1]
	s_delay_alu instid0(VALU_DEP_1) | instskip(NEXT) | instid1(VALU_DEP_1)
	v_pk_fma_f32 v[48:49], v[48:49], v[50:51], v[52:53] op_sel:[0,0,1] op_sel_hi:[0,1,0] neg_lo:[1,0,0] neg_hi:[1,0,0]
	v_pk_add_f32 v[26:27], v[26:27], v[48:49]
	s_and_not1_b32 exec_lo, exec_lo, s37
	s_cbranch_execnz .LBB10_77
; %bb.78:                               ;   in Loop: Header=BB10_4 Depth=1
	s_or_b32 exec_lo, exec_lo, s37
	v_lshl_add_u64 v[28:29], v[8:9], 3, s[34:35]
	s_or_b32 s7, s7, exec_lo
	s_delay_alu instid0(VALU_DEP_1)
	v_add_nc_u64_e32 v[28:29], v[28:29], v[2:3]
	global_store_b32 v[28:29], v26, off
.LBB10_79:                              ;   in Loop: Header=BB10_4 Depth=1
	s_wait_xcnt 0x0
	s_or_b32 exec_lo, exec_lo, s36
.LBB10_80:                              ;   in Loop: Header=BB10_4 Depth=1
	s_and_saveexec_b32 s34, s7
	s_cbranch_execz .LBB10_82
; %bb.81:                               ;   in Loop: Header=BB10_4 Depth=1
	global_store_b32 v[28:29], v27, off offset:4
.LBB10_82:                              ;   in Loop: Header=BB10_4 Depth=1
	s_wait_xcnt 0x0
	s_or_b32 exec_lo, exec_lo, s34
	s_and_saveexec_b32 s7, s2
	s_cbranch_execz .LBB10_2
; %bb.83:                               ;   in Loop: Header=BB10_4 Depth=1
	s_mul_u64 s[34:35], s[20:21], s[24:25]
	s_and_b32 vcc_lo, exec_lo, s43
	s_mov_b32 s36, -1
	s_cbranch_vccz .LBB10_88
; %bb.84:                               ;   in Loop: Header=BB10_4 Depth=1
	s_and_saveexec_b32 s36, s4
	s_cbranch_execz .LBB10_87
; %bb.85:                               ;   in Loop: Header=BB10_4 Depth=1
	v_add_nc_u64_e32 v[26:27], s[34:35], v[18:19]
	v_mov_b32_e32 v25, v35
	s_mov_b32 s37, 0
	s_mov_b32 s38, s26
.LBB10_86:                              ;   Parent Loop BB10_4 Depth=1
                                        ; =>  This Inner Loop Header: Depth=2
	ds_load_b64 v[28:29], v25
	s_add_co_i32 s38, s38, -1
	v_add_nc_u32_e32 v25, s28, v25
	v_cmp_le_i32_e32 vcc_lo, s38, v4
	s_or_b32 s37, vcc_lo, s37
	s_wait_dscnt 0x0
	global_store_b64 v[26:27], v[28:29], off
	s_wait_xcnt 0x0
	v_add_nc_u64_e32 v[26:27], s[30:31], v[26:27]
	s_and_not1_b32 exec_lo, exec_lo, s37
	s_cbranch_execnz .LBB10_86
.LBB10_87:                              ;   in Loop: Header=BB10_4 Depth=1
	s_or_b32 exec_lo, exec_lo, s36
	s_mov_b32 s36, 0
.LBB10_88:                              ;   in Loop: Header=BB10_4 Depth=1
	s_delay_alu instid0(SALU_CYCLE_1)
	s_and_not1_b32 vcc_lo, exec_lo, s36
	s_cbranch_vccnz .LBB10_2
; %bb.89:                               ;   in Loop: Header=BB10_4 Depth=1
	s_and_b32 exec_lo, exec_lo, s5
	s_cbranch_execz .LBB10_2
; %bb.90:                               ;   in Loop: Header=BB10_4 Depth=1
	v_add_nc_u64_e32 v[26:27], s[34:35], v[20:21]
	v_dual_mov_b32 v25, v30 :: v_dual_mov_b32 v28, v46
	s_mov_b32 s34, 0
.LBB10_91:                              ;   Parent Loop BB10_4 Depth=1
                                        ; =>  This Inner Loop Header: Depth=2
	ds_load_b64 v[48:49], v25
	v_dual_add_nc_u32 v28, -1, v28 :: v_dual_add_nc_u32 v25, s28, v25
	s_delay_alu instid0(VALU_DEP_1)
	v_cmp_eq_u32_e32 vcc_lo, 0, v28
	s_or_b32 s34, vcc_lo, s34
	s_wait_dscnt 0x0
	global_store_b64 v[26:27], v[48:49], off
	s_wait_xcnt 0x0
	v_add_nc_u64_e32 v[26:27], s[12:13], v[26:27]
	s_and_not1_b32 exec_lo, exec_lo, s34
	s_cbranch_execnz .LBB10_91
	s_branch .LBB10_2
.LBB10_92:
	s_endpgm
	.section	.rodata,"a",@progbits
	.p2align	6, 0x0
	.amdhsa_kernel _ZL29rocblas_trtri_diagonal_kernelILi16E19rocblas_complex_numIfEPKS1_PS1_Ev13rocblas_fill_17rocblas_diagonal_iT1_lillT2_lilli
		.amdhsa_group_segment_fixed_size 8192
		.amdhsa_private_segment_fixed_size 0
		.amdhsa_kernarg_size 100
		.amdhsa_user_sgpr_count 2
		.amdhsa_user_sgpr_dispatch_ptr 0
		.amdhsa_user_sgpr_queue_ptr 0
		.amdhsa_user_sgpr_kernarg_segment_ptr 1
		.amdhsa_user_sgpr_dispatch_id 0
		.amdhsa_user_sgpr_kernarg_preload_length 0
		.amdhsa_user_sgpr_kernarg_preload_offset 0
		.amdhsa_user_sgpr_private_segment_size 0
		.amdhsa_wavefront_size32 1
		.amdhsa_uses_dynamic_stack 0
		.amdhsa_enable_private_segment 0
		.amdhsa_system_sgpr_workgroup_id_x 1
		.amdhsa_system_sgpr_workgroup_id_y 0
		.amdhsa_system_sgpr_workgroup_id_z 1
		.amdhsa_system_sgpr_workgroup_info 0
		.amdhsa_system_vgpr_workitem_id 0
		.amdhsa_next_free_vgpr 58
		.amdhsa_next_free_sgpr 53
		.amdhsa_named_barrier_count 0
		.amdhsa_reserve_vcc 1
		.amdhsa_float_round_mode_32 0
		.amdhsa_float_round_mode_16_64 0
		.amdhsa_float_denorm_mode_32 3
		.amdhsa_float_denorm_mode_16_64 3
		.amdhsa_fp16_overflow 0
		.amdhsa_memory_ordered 1
		.amdhsa_forward_progress 1
		.amdhsa_inst_pref_size 29
		.amdhsa_round_robin_scheduling 0
		.amdhsa_exception_fp_ieee_invalid_op 0
		.amdhsa_exception_fp_denorm_src 0
		.amdhsa_exception_fp_ieee_div_zero 0
		.amdhsa_exception_fp_ieee_overflow 0
		.amdhsa_exception_fp_ieee_underflow 0
		.amdhsa_exception_fp_ieee_inexact 0
		.amdhsa_exception_int_div_zero 0
	.end_amdhsa_kernel
	.section	.text._ZL29rocblas_trtri_diagonal_kernelILi16E19rocblas_complex_numIfEPKS1_PS1_Ev13rocblas_fill_17rocblas_diagonal_iT1_lillT2_lilli,"axG",@progbits,_ZL29rocblas_trtri_diagonal_kernelILi16E19rocblas_complex_numIfEPKS1_PS1_Ev13rocblas_fill_17rocblas_diagonal_iT1_lillT2_lilli,comdat
.Lfunc_end10:
	.size	_ZL29rocblas_trtri_diagonal_kernelILi16E19rocblas_complex_numIfEPKS1_PS1_Ev13rocblas_fill_17rocblas_diagonal_iT1_lillT2_lilli, .Lfunc_end10-_ZL29rocblas_trtri_diagonal_kernelILi16E19rocblas_complex_numIfEPKS1_PS1_Ev13rocblas_fill_17rocblas_diagonal_iT1_lillT2_lilli
                                        ; -- End function
	.set _ZL29rocblas_trtri_diagonal_kernelILi16E19rocblas_complex_numIfEPKS1_PS1_Ev13rocblas_fill_17rocblas_diagonal_iT1_lillT2_lilli.num_vgpr, 58
	.set _ZL29rocblas_trtri_diagonal_kernelILi16E19rocblas_complex_numIfEPKS1_PS1_Ev13rocblas_fill_17rocblas_diagonal_iT1_lillT2_lilli.num_agpr, 0
	.set _ZL29rocblas_trtri_diagonal_kernelILi16E19rocblas_complex_numIfEPKS1_PS1_Ev13rocblas_fill_17rocblas_diagonal_iT1_lillT2_lilli.numbered_sgpr, 53
	.set _ZL29rocblas_trtri_diagonal_kernelILi16E19rocblas_complex_numIfEPKS1_PS1_Ev13rocblas_fill_17rocblas_diagonal_iT1_lillT2_lilli.num_named_barrier, 0
	.set _ZL29rocblas_trtri_diagonal_kernelILi16E19rocblas_complex_numIfEPKS1_PS1_Ev13rocblas_fill_17rocblas_diagonal_iT1_lillT2_lilli.private_seg_size, 0
	.set _ZL29rocblas_trtri_diagonal_kernelILi16E19rocblas_complex_numIfEPKS1_PS1_Ev13rocblas_fill_17rocblas_diagonal_iT1_lillT2_lilli.uses_vcc, 1
	.set _ZL29rocblas_trtri_diagonal_kernelILi16E19rocblas_complex_numIfEPKS1_PS1_Ev13rocblas_fill_17rocblas_diagonal_iT1_lillT2_lilli.uses_flat_scratch, 0
	.set _ZL29rocblas_trtri_diagonal_kernelILi16E19rocblas_complex_numIfEPKS1_PS1_Ev13rocblas_fill_17rocblas_diagonal_iT1_lillT2_lilli.has_dyn_sized_stack, 0
	.set _ZL29rocblas_trtri_diagonal_kernelILi16E19rocblas_complex_numIfEPKS1_PS1_Ev13rocblas_fill_17rocblas_diagonal_iT1_lillT2_lilli.has_recursion, 0
	.set _ZL29rocblas_trtri_diagonal_kernelILi16E19rocblas_complex_numIfEPKS1_PS1_Ev13rocblas_fill_17rocblas_diagonal_iT1_lillT2_lilli.has_indirect_call, 0
	.section	.AMDGPU.csdata,"",@progbits
; Kernel info:
; codeLenInByte = 3708
; TotalNumSgprs: 55
; NumVgprs: 58
; ScratchSize: 0
; MemoryBound: 0
; FloatMode: 240
; IeeeMode: 1
; LDSByteSize: 8192 bytes/workgroup (compile time only)
; SGPRBlocks: 0
; VGPRBlocks: 3
; NumSGPRsForWavesPerEU: 55
; NumVGPRsForWavesPerEU: 58
; NamedBarCnt: 0
; Occupancy: 16
; WaveLimiterHint : 0
; COMPUTE_PGM_RSRC2:SCRATCH_EN: 0
; COMPUTE_PGM_RSRC2:USER_SGPR: 2
; COMPUTE_PGM_RSRC2:TRAP_HANDLER: 0
; COMPUTE_PGM_RSRC2:TGID_X_EN: 1
; COMPUTE_PGM_RSRC2:TGID_Y_EN: 0
; COMPUTE_PGM_RSRC2:TGID_Z_EN: 1
; COMPUTE_PGM_RSRC2:TIDIG_COMP_CNT: 0
	.section	.text._ZL30rocblas_trtri_remainder_kernelILi16E19rocblas_complex_numIfEPKS1_PS1_Ev13rocblas_fill_17rocblas_diagonal_iT1_lillT2_lilli,"axG",@progbits,_ZL30rocblas_trtri_remainder_kernelILi16E19rocblas_complex_numIfEPKS1_PS1_Ev13rocblas_fill_17rocblas_diagonal_iT1_lillT2_lilli,comdat
	.globl	_ZL30rocblas_trtri_remainder_kernelILi16E19rocblas_complex_numIfEPKS1_PS1_Ev13rocblas_fill_17rocblas_diagonal_iT1_lillT2_lilli ; -- Begin function _ZL30rocblas_trtri_remainder_kernelILi16E19rocblas_complex_numIfEPKS1_PS1_Ev13rocblas_fill_17rocblas_diagonal_iT1_lillT2_lilli
	.p2align	8
	.type	_ZL30rocblas_trtri_remainder_kernelILi16E19rocblas_complex_numIfEPKS1_PS1_Ev13rocblas_fill_17rocblas_diagonal_iT1_lillT2_lilli,@function
_ZL30rocblas_trtri_remainder_kernelILi16E19rocblas_complex_numIfEPKS1_PS1_Ev13rocblas_fill_17rocblas_diagonal_iT1_lillT2_lilli: ; @_ZL30rocblas_trtri_remainder_kernelILi16E19rocblas_complex_numIfEPKS1_PS1_Ev13rocblas_fill_17rocblas_diagonal_iT1_lillT2_lilli
; %bb.0:
	s_load_b32 s23, s[0:1], 0x60
	s_bfe_u32 s2, ttmp6, 0x40014
	s_lshr_b32 s3, ttmp7, 16
	s_add_co_i32 s2, s2, 1
	s_bfe_u32 s4, ttmp6, 0x40008
	s_mul_i32 s2, s3, s2
	s_getreg_b32 s26, hwreg(HW_REG_IB_STS2, 6, 4)
	s_add_co_i32 s4, s4, s2
	s_cmp_eq_u32 s26, 0
	s_cselect_b32 s2, s3, s4
	s_mov_b32 s3, 0
	s_wait_kmcnt 0x0
	s_cmp_ge_u32 s2, s23
	s_cbranch_scc1 .LBB11_45
; %bb.1:
	s_clause 0x5
	s_load_b32 s28, s[0:1], 0x20
	s_load_b32 s24, s[0:1], 0x48
	s_load_b96 s[20:22], s[0:1], 0x0
	s_load_b256 s[4:11], s[0:1], 0x28
	s_load_b128 s[16:19], s[0:1], 0x10
	s_load_b128 s[12:15], s[0:1], 0x50
	s_wait_xcnt 0x0
	s_bfe_u32 s1, ttmp6, 0x4000c
	s_and_b32 s0, ttmp6, 15
	s_add_co_i32 s1, s1, 1
	s_mov_b32 s31, s3
	s_mul_i32 s1, ttmp9, s1
	s_mov_b32 s35, s3
	s_add_co_i32 s1, s0, s1
	v_mov_b64_e32 v[12:13], 0x3f800000
	v_mov_b32_e32 v3, 0
	s_wait_kmcnt 0x0
	s_ashr_i32 s29, s28, 31
	s_ashr_i32 s25, s24, 31
	s_cmp_eq_u32 s26, 0
	v_mul_lo_u32 v4, v0, s22
	s_cselect_b32 s30, ttmp9, s1
	s_cmp_gt_i32 s22, 0
	s_mul_u64 s[6:7], s[6:7], s[30:31]
	s_cselect_b32 s26, -1, 0
	s_cmp_lg_u32 s20, 0x7a
	s_mul_u64 s[14:15], s[14:15], s[30:31]
	s_cselect_b32 s20, -1, 0
	s_add_co_i32 s34, s22, -1
	s_delay_alu instid0(SALU_CYCLE_1)
	v_dual_lshlrev_b32 v2, 3, v0 :: v_dual_sub_nc_u32 v1, s34, v0
	s_cmp_lg_u32 s21, 0x84
	s_mul_u64 s[36:37], s[28:29], s[34:35]
	s_cselect_b32 s21, -1, 0
	s_lshl_b64 s[6:7], s[6:7], 3
	s_lshl_b64 s[18:19], s[18:19], 3
	;; [unrolled: 1-line block ×3, first 2 shown]
	s_add_nc_u64 s[38:39], s[6:7], s[18:19]
	v_lshlrev_b32_e32 v1, 3, v1
	s_add_nc_u64 s[6:7], s[38:39], s[36:37]
	s_lshl_b64 s[14:15], s[14:15], 3
	s_add_nc_u64 s[6:7], s[16:17], s[6:7]
	s_add_nc_u64 s[16:17], s[16:17], s[38:39]
	s_lshl_b64 s[10:11], s[10:11], 3
	v_add_nc_u64_e32 v[6:7], s[16:17], v[2:3]
	s_mul_u64 s[16:17], s[24:25], s[34:35]
	s_add_nc_u64 s[10:11], s[14:15], s[10:11]
	s_lshl_b64 s[16:17], s[16:17], 3
	v_add_lshl_u32 v18, v4, v0, 3
	s_add_nc_u64 s[14:15], s[10:11], s[16:17]
	s_lshl_b32 s27, s22, 3
	s_add_nc_u64 s[14:15], s[8:9], s[14:15]
	s_add_nc_u64 s[8:9], s[8:9], s[10:11]
	v_add_nc_u64_e32 v[4:5], s[6:7], v[2:3]
	v_add_nc_u64_e32 v[8:9], s[14:15], v[2:3]
	;; [unrolled: 1-line block ×3, first 2 shown]
	v_cmp_gt_u32_e64 s0, s22, v0
	v_dual_add_nc_u32 v19, 1, v0 :: v_dual_add_nc_u32 v20, s27, v2
	s_lshl_b64 s[6:7], s[28:29], 3
	s_lshl_b64 s[8:9], s[24:25], 3
	;; [unrolled: 1-line block ×3, first 2 shown]
	s_sub_nc_u64 s[18:19], 0, s[6:7]
	s_add_co_i32 s16, s27, 8
	s_lshl_b64 s[10:11], s[12:13], 3
	s_sub_nc_u64 s[12:13], 0, s[8:9]
	s_branch .LBB11_4
.LBB11_2:                               ;   in Loop: Header=BB11_4 Depth=1
	s_or_b32 exec_lo, exec_lo, s1
.LBB11_3:                               ;   in Loop: Header=BB11_4 Depth=1
	s_add_co_i32 s2, s2, 0x10000
	s_delay_alu instid0(SALU_CYCLE_1)
	s_cmp_lt_u32 s2, s23
	s_cbranch_scc0 .LBB11_45
.LBB11_4:                               ; =>This Loop Header: Depth=1
                                        ;     Child Loop BB11_8 Depth 2
                                        ;     Child Loop BB11_12 Depth 2
	;; [unrolled: 1-line block ×3, first 2 shown]
                                        ;       Child Loop BB11_33 Depth 3
                                        ;     Child Loop BB11_40 Depth 2
                                        ;     Child Loop BB11_44 Depth 2
	s_and_not1_b32 vcc_lo, exec_lo, s26
	s_cbranch_vccnz .LBB11_3
; %bb.5:                                ;   in Loop: Header=BB11_4 Depth=1
	s_and_saveexec_b32 s1, s0
	s_cbranch_execz .LBB11_13
; %bb.6:                                ;   in Loop: Header=BB11_4 Depth=1
	s_mul_u64 s[14:15], s[4:5], s[2:3]
	s_and_not1_b32 vcc_lo, exec_lo, s20
	s_mov_b32 s17, -1
	s_cbranch_vccnz .LBB11_10
; %bb.7:                                ;   in Loop: Header=BB11_4 Depth=1
	v_add_nc_u64_e32 v[14:15], s[14:15], v[4:5]
	v_mov_b32_e32 v3, v1
	s_mov_b32 s17, 0
	s_mov_b32 s24, s22
.LBB11_8:                               ;   Parent Loop BB11_4 Depth=1
                                        ; =>  This Inner Loop Header: Depth=2
	global_load_b64 v[16:17], v[14:15], off
	s_add_co_i32 s24, s24, -1
	s_wait_xcnt 0x0
	v_add_nc_u64_e32 v[14:15], s[18:19], v[14:15]
	v_cmp_le_u32_e32 vcc_lo, s24, v0
	s_or_b32 s17, vcc_lo, s17
	s_wait_loadcnt 0x0
	ds_store_b64 v3, v[16:17]
	v_add_nc_u32_e32 v3, s27, v3
	s_and_not1_b32 exec_lo, exec_lo, s17
	s_cbranch_execnz .LBB11_8
; %bb.9:                                ;   in Loop: Header=BB11_4 Depth=1
	s_or_b32 exec_lo, exec_lo, s17
	s_mov_b32 s17, 0
.LBB11_10:                              ;   in Loop: Header=BB11_4 Depth=1
	s_delay_alu instid0(SALU_CYCLE_1)
	s_and_b32 vcc_lo, exec_lo, s17
	s_cbranch_vccz .LBB11_13
; %bb.11:                               ;   in Loop: Header=BB11_4 Depth=1
	v_add_nc_u64_e32 v[14:15], s[14:15], v[6:7]
	v_dual_mov_b32 v3, v2 :: v_dual_mov_b32 v16, v19
	s_mov_b32 s14, 0
.LBB11_12:                              ;   Parent Loop BB11_4 Depth=1
                                        ; =>  This Inner Loop Header: Depth=2
	global_load_b64 v[22:23], v[14:15], off
	v_add_nc_u32_e32 v16, -1, v16
	s_wait_xcnt 0x0
	v_add_nc_u64_e32 v[14:15], s[6:7], v[14:15]
	s_wait_loadcnt 0x0
	ds_store_b64 v3, v[22:23]
	v_add_nc_u32_e32 v3, s27, v3
	v_cmp_eq_u32_e32 vcc_lo, 0, v16
	s_or_b32 s14, vcc_lo, s14
	s_delay_alu instid0(SALU_CYCLE_1)
	s_and_not1_b32 exec_lo, exec_lo, s14
	s_cbranch_execnz .LBB11_12
.LBB11_13:                              ;   in Loop: Header=BB11_4 Depth=1
	s_or_b32 exec_lo, exec_lo, s1
	s_wait_dscnt 0x0
	s_barrier_signal -1
	s_barrier_wait -1
	s_and_saveexec_b32 s14, s0
	s_cbranch_execz .LBB11_26
; %bb.14:                               ;   in Loop: Header=BB11_4 Depth=1
	s_and_b32 vcc_lo, exec_lo, s21
	s_mov_b32 s1, -1
	s_cbranch_vccz .LBB11_24
; %bb.15:                               ;   in Loop: Header=BB11_4 Depth=1
	ds_load_b64 v[14:15], v18
	s_wait_dscnt 0x0
	v_cmp_neq_f32_e32 vcc_lo, 0, v14
	v_cmp_neq_f32_e64 s1, 0, v15
	s_or_b32 s1, vcc_lo, s1
	s_delay_alu instid0(SALU_CYCLE_1) | instskip(NEXT) | instid1(SALU_CYCLE_1)
	s_and_saveexec_b32 s15, s1
	s_xor_b32 s1, exec_lo, s15
	s_cbranch_execz .LBB11_21
; %bb.16:                               ;   in Loop: Header=BB11_4 Depth=1
	v_cmp_ngt_f32_e64 s15, |v14|, |v15|
                                        ; implicit-def: $vgpr16_vgpr17
	s_and_saveexec_b32 s17, s15
	s_delay_alu instid0(SALU_CYCLE_1)
	s_xor_b32 s15, exec_lo, s17
	s_cbranch_execz .LBB11_18
; %bb.17:                               ;   in Loop: Header=BB11_4 Depth=1
	v_div_scale_f32 v3, null, v15, v15, v14
	v_div_scale_f32 v21, vcc_lo, v14, v15, v14
	s_delay_alu instid0(VALU_DEP_2) | instskip(SKIP_1) | instid1(TRANS32_DEP_1)
	v_rcp_f32_e32 v16, v3
	v_nop
	v_fma_f32 v17, -v3, v16, 1.0
	s_delay_alu instid0(VALU_DEP_1) | instskip(NEXT) | instid1(VALU_DEP_1)
	v_fmac_f32_e32 v16, v17, v16
	v_mul_f32_e32 v17, v21, v16
	s_delay_alu instid0(VALU_DEP_1) | instskip(NEXT) | instid1(VALU_DEP_1)
	v_fma_f32 v22, -v3, v17, v21
	v_fmac_f32_e32 v17, v22, v16
	s_delay_alu instid0(VALU_DEP_1) | instskip(NEXT) | instid1(VALU_DEP_1)
	v_fma_f32 v3, -v3, v17, v21
	v_div_fmas_f32 v3, v3, v16, v17
	s_delay_alu instid0(VALU_DEP_1) | instskip(NEXT) | instid1(VALU_DEP_1)
	v_div_fixup_f32 v3, v3, v15, v14
	v_fmac_f32_e32 v15, v14, v3
	s_delay_alu instid0(VALU_DEP_1) | instskip(SKIP_1) | instid1(VALU_DEP_2)
	v_div_scale_f32 v14, null, v15, v15, 1.0
	v_div_scale_f32 v21, vcc_lo, 1.0, v15, 1.0
	v_rcp_f32_e32 v16, v14
	v_nop
	s_delay_alu instid0(TRANS32_DEP_1) | instskip(NEXT) | instid1(VALU_DEP_1)
	v_fma_f32 v17, -v14, v16, 1.0
	v_fmac_f32_e32 v16, v17, v16
	s_delay_alu instid0(VALU_DEP_1) | instskip(NEXT) | instid1(VALU_DEP_1)
	v_mul_f32_e32 v17, v21, v16
	v_fma_f32 v22, -v14, v17, v21
	s_delay_alu instid0(VALU_DEP_1) | instskip(NEXT) | instid1(VALU_DEP_1)
	v_fmac_f32_e32 v17, v22, v16
	v_fma_f32 v14, -v14, v17, v21
	s_delay_alu instid0(VALU_DEP_1) | instskip(NEXT) | instid1(VALU_DEP_1)
	v_div_fmas_f32 v14, v14, v16, v17
	v_div_fixup_f32 v14, v14, v15, 1.0
	s_delay_alu instid0(VALU_DEP_1)
	v_mul_f32_e32 v16, v3, v14
	v_xor_b32_e32 v17, 0x80000000, v14
                                        ; implicit-def: $vgpr14_vgpr15
.LBB11_18:                              ;   in Loop: Header=BB11_4 Depth=1
	s_and_not1_saveexec_b32 s15, s15
	s_cbranch_execz .LBB11_20
; %bb.19:                               ;   in Loop: Header=BB11_4 Depth=1
	v_div_scale_f32 v3, null, v14, v14, v15
	v_div_scale_f32 v21, vcc_lo, v15, v14, v15
	s_delay_alu instid0(VALU_DEP_2) | instskip(SKIP_1) | instid1(TRANS32_DEP_1)
	v_rcp_f32_e32 v16, v3
	v_nop
	v_fma_f32 v17, -v3, v16, 1.0
	s_delay_alu instid0(VALU_DEP_1) | instskip(NEXT) | instid1(VALU_DEP_1)
	v_fmac_f32_e32 v16, v17, v16
	v_mul_f32_e32 v17, v21, v16
	s_delay_alu instid0(VALU_DEP_1) | instskip(NEXT) | instid1(VALU_DEP_1)
	v_fma_f32 v22, -v3, v17, v21
	v_fmac_f32_e32 v17, v22, v16
	s_delay_alu instid0(VALU_DEP_1) | instskip(NEXT) | instid1(VALU_DEP_1)
	v_fma_f32 v3, -v3, v17, v21
	v_div_fmas_f32 v3, v3, v16, v17
	s_delay_alu instid0(VALU_DEP_1) | instskip(NEXT) | instid1(VALU_DEP_1)
	v_div_fixup_f32 v3, v3, v14, v15
	v_fmac_f32_e32 v14, v15, v3
	s_delay_alu instid0(VALU_DEP_1) | instskip(NEXT) | instid1(VALU_DEP_1)
	v_div_scale_f32 v15, null, v14, v14, 1.0
	v_rcp_f32_e32 v16, v15
	v_nop
	s_delay_alu instid0(TRANS32_DEP_1) | instskip(NEXT) | instid1(VALU_DEP_1)
	v_fma_f32 v17, -v15, v16, 1.0
	v_fmac_f32_e32 v16, v17, v16
	v_div_scale_f32 v17, vcc_lo, 1.0, v14, 1.0
	s_delay_alu instid0(VALU_DEP_1) | instskip(NEXT) | instid1(VALU_DEP_1)
	v_mul_f32_e32 v21, v17, v16
	v_fma_f32 v22, -v15, v21, v17
	s_delay_alu instid0(VALU_DEP_1) | instskip(NEXT) | instid1(VALU_DEP_1)
	v_fmac_f32_e32 v21, v22, v16
	v_fma_f32 v15, -v15, v21, v17
	s_delay_alu instid0(VALU_DEP_1) | instskip(NEXT) | instid1(VALU_DEP_1)
	v_div_fmas_f32 v15, v15, v16, v21
	v_div_fixup_f32 v16, v15, v14, 1.0
	s_delay_alu instid0(VALU_DEP_1)
	v_mul_f32_e64 v17, v3, -v16
.LBB11_20:                              ;   in Loop: Header=BB11_4 Depth=1
	s_or_b32 exec_lo, exec_lo, s15
	ds_store_b64 v18, v[16:17]
.LBB11_21:                              ;   in Loop: Header=BB11_4 Depth=1
	s_and_not1_saveexec_b32 s1, s1
; %bb.22:                               ;   in Loop: Header=BB11_4 Depth=1
	ds_store_b64 v18, v[12:13]
; %bb.23:                               ;   in Loop: Header=BB11_4 Depth=1
	s_or_b32 exec_lo, exec_lo, s1
	s_mov_b32 s1, 0
.LBB11_24:                              ;   in Loop: Header=BB11_4 Depth=1
	s_delay_alu instid0(SALU_CYCLE_1)
	s_and_not1_b32 vcc_lo, exec_lo, s1
	s_cbranch_vccnz .LBB11_26
; %bb.25:                               ;   in Loop: Header=BB11_4 Depth=1
	ds_store_b64 v18, v[12:13]
.LBB11_26:                              ;   in Loop: Header=BB11_4 Depth=1
	s_or_b32 exec_lo, exec_lo, s14
	v_mov_b32_e32 v3, v20
	s_mov_b32 s1, 0
	s_mov_b32 s14, 8
	s_wait_dscnt 0x0
	s_barrier_signal -1
	s_barrier_wait -1
	s_branch .LBB11_28
.LBB11_27:                              ;   in Loop: Header=BB11_28 Depth=2
	v_add_nc_u32_e32 v3, s27, v3
	s_add_co_i32 s14, s14, s16
	s_cmp_eq_u32 s1, s22
	s_barrier_signal -1
	s_barrier_wait -1
	s_cbranch_scc1 .LBB11_37
.LBB11_28:                              ;   Parent Loop BB11_4 Depth=1
                                        ; =>  This Loop Header: Depth=2
                                        ;       Child Loop BB11_33 Depth 3
	v_dual_mov_b32 v15, 0 :: v_dual_mov_b32 v14, 0
	s_mul_i32 s15, s1, s22
	s_mov_b32 s17, exec_lo
	v_cmpx_lt_u32_e64 s1, v0
	s_cbranch_execz .LBB11_30
; %bb.29:                               ;   in Loop: Header=BB11_28 Depth=2
	s_lshl_b32 s24, s15, 3
	s_lshl_b32 s25, s1, 3
	s_delay_alu instid0(SALU_CYCLE_1) | instskip(NEXT) | instid1(SALU_CYCLE_1)
	s_add_co_i32 s25, s25, s24
	v_dual_add_nc_u32 v14, s24, v2 :: v_dual_mov_b32 v16, s25
	ds_load_b64 v[14:15], v14
	ds_load_b64 v[16:17], v16
	s_wait_dscnt 0x0
	v_dual_mul_f32 v21, v17, v15 :: v_dual_mul_f32 v22, v16, v15
	s_delay_alu instid0(VALU_DEP_1) | instskip(NEXT) | instid1(VALU_DEP_1)
	v_dual_fma_f32 v15, v16, v14, -v21 :: v_dual_fmac_f32 v22, v17, v14
	v_dual_add_f32 v15, 0, v15 :: v_dual_add_f32 v14, 0, v22
.LBB11_30:                              ;   in Loop: Header=BB11_28 Depth=2
	s_or_b32 exec_lo, exec_lo, s17
	s_add_co_i32 s1, s1, 1
	s_delay_alu instid0(SALU_CYCLE_1)
	s_cmp_ge_i32 s1, s22
	s_barrier_signal -1
	s_barrier_wait -1
	s_cbranch_scc1 .LBB11_27
; %bb.31:                               ;   in Loop: Header=BB11_28 Depth=2
	v_lshl_add_u32 v16, s15, 3, v2
	v_mov_b32_e32 v17, v3
	s_mov_b32 s15, s14
	s_mov_b32 s17, s1
	s_branch .LBB11_33
.LBB11_32:                              ;   in Loop: Header=BB11_33 Depth=3
	s_or_b32 exec_lo, exec_lo, s24
	v_add_nc_u32_e32 v17, s27, v17
	s_add_co_i32 s17, s17, 1
	s_add_co_i32 s15, s15, 8
	s_cmp_eq_u32 s22, s17
	s_barrier_signal -1
	s_barrier_wait -1
	s_cbranch_scc1 .LBB11_27
.LBB11_33:                              ;   Parent Loop BB11_4 Depth=1
                                        ;     Parent Loop BB11_28 Depth=2
                                        ; =>    This Inner Loop Header: Depth=3
	s_mov_b32 s24, exec_lo
	v_cmpx_eq_u32_e64 s17, v0
	s_cbranch_execz .LBB11_35
; %bb.34:                               ;   in Loop: Header=BB11_33 Depth=3
	ds_load_b64 v[22:23], v18
	v_sub_f32_e32 v24, 0, v15
	s_wait_dscnt 0x0
	v_pk_mul_f32 v[26:27], v[14:15], v[22:23] op_sel:[0,1] op_sel_hi:[0,0]
	s_delay_alu instid0(VALU_DEP_1) | instskip(SKIP_1) | instid1(VALU_DEP_2)
	v_pk_fma_f32 v[28:29], v[24:25], v[22:23], v[26:27] op_sel_hi:[0,1,1] neg_lo:[0,0,1] neg_hi:[0,0,1]
	v_pk_fma_f32 v[22:23], v[24:25], v[22:23], v[26:27]
	v_mov_b32_e32 v23, v29
	ds_store_b64 v16, v[22:23]
.LBB11_35:                              ;   in Loop: Header=BB11_33 Depth=3
	s_or_b32 exec_lo, exec_lo, s24
	s_delay_alu instid0(SALU_CYCLE_1)
	s_mov_b32 s24, exec_lo
	s_wait_dscnt 0x0
	s_barrier_signal -1
	s_barrier_wait -1
	v_cmpx_lt_u32_e64 s17, v0
	s_cbranch_execz .LBB11_32
; %bb.36:                               ;   in Loop: Header=BB11_33 Depth=3
	v_mov_b32_e32 v21, s15
	ds_load_b64 v[22:23], v17
	ds_load_b64 v[24:25], v21
	s_wait_dscnt 0x0
	v_dual_mul_f32 v21, v25, v23 :: v_dual_mul_f32 v23, v24, v23
	s_delay_alu instid0(VALU_DEP_1) | instskip(NEXT) | instid1(VALU_DEP_1)
	v_dual_fmac_f32 v23, v25, v22 :: v_dual_fma_f32 v21, v24, v22, -v21
	v_dual_add_f32 v14, v14, v23 :: v_dual_add_f32 v15, v15, v21
	s_branch .LBB11_32
.LBB11_37:                              ;   in Loop: Header=BB11_4 Depth=1
	s_and_saveexec_b32 s1, s0
	s_cbranch_execz .LBB11_2
; %bb.38:                               ;   in Loop: Header=BB11_4 Depth=1
	s_mul_u64 s[14:15], s[10:11], s[2:3]
	s_and_not1_b32 vcc_lo, exec_lo, s20
	s_mov_b32 s17, -1
	s_cbranch_vccnz .LBB11_42
; %bb.39:                               ;   in Loop: Header=BB11_4 Depth=1
	v_add_nc_u64_e32 v[14:15], s[14:15], v[8:9]
	v_mov_b32_e32 v3, v1
	s_mov_b32 s17, 0
	s_mov_b32 s24, s22
.LBB11_40:                              ;   Parent Loop BB11_4 Depth=1
                                        ; =>  This Inner Loop Header: Depth=2
	ds_load_b64 v[16:17], v3
	s_add_co_i32 s24, s24, -1
	v_add_nc_u32_e32 v3, s27, v3
	v_cmp_le_u32_e32 vcc_lo, s24, v0
	s_or_b32 s17, vcc_lo, s17
	s_wait_dscnt 0x0
	global_store_b64 v[14:15], v[16:17], off
	s_wait_xcnt 0x0
	v_add_nc_u64_e32 v[14:15], s[12:13], v[14:15]
	s_and_not1_b32 exec_lo, exec_lo, s17
	s_cbranch_execnz .LBB11_40
; %bb.41:                               ;   in Loop: Header=BB11_4 Depth=1
	s_or_b32 exec_lo, exec_lo, s17
	s_mov_b32 s17, 0
.LBB11_42:                              ;   in Loop: Header=BB11_4 Depth=1
	s_delay_alu instid0(SALU_CYCLE_1)
	s_and_b32 vcc_lo, exec_lo, s17
	s_cbranch_vccz .LBB11_2
; %bb.43:                               ;   in Loop: Header=BB11_4 Depth=1
	v_add_nc_u64_e32 v[14:15], s[14:15], v[10:11]
	v_dual_mov_b32 v3, v2 :: v_dual_mov_b32 v16, v19
	s_mov_b32 s14, 0
.LBB11_44:                              ;   Parent Loop BB11_4 Depth=1
                                        ; =>  This Inner Loop Header: Depth=2
	ds_load_b64 v[22:23], v3
	v_dual_add_nc_u32 v16, -1, v16 :: v_dual_add_nc_u32 v3, s27, v3
	s_delay_alu instid0(VALU_DEP_1)
	v_cmp_eq_u32_e32 vcc_lo, 0, v16
	s_or_b32 s14, vcc_lo, s14
	s_wait_dscnt 0x0
	global_store_b64 v[14:15], v[22:23], off
	s_wait_xcnt 0x0
	v_add_nc_u64_e32 v[14:15], s[8:9], v[14:15]
	s_and_not1_b32 exec_lo, exec_lo, s14
	s_cbranch_execnz .LBB11_44
	s_branch .LBB11_2
.LBB11_45:
	s_endpgm
	.section	.rodata,"a",@progbits
	.p2align	6, 0x0
	.amdhsa_kernel _ZL30rocblas_trtri_remainder_kernelILi16E19rocblas_complex_numIfEPKS1_PS1_Ev13rocblas_fill_17rocblas_diagonal_iT1_lillT2_lilli
		.amdhsa_group_segment_fixed_size 8192
		.amdhsa_private_segment_fixed_size 0
		.amdhsa_kernarg_size 100
		.amdhsa_user_sgpr_count 2
		.amdhsa_user_sgpr_dispatch_ptr 0
		.amdhsa_user_sgpr_queue_ptr 0
		.amdhsa_user_sgpr_kernarg_segment_ptr 1
		.amdhsa_user_sgpr_dispatch_id 0
		.amdhsa_user_sgpr_kernarg_preload_length 0
		.amdhsa_user_sgpr_kernarg_preload_offset 0
		.amdhsa_user_sgpr_private_segment_size 0
		.amdhsa_wavefront_size32 1
		.amdhsa_uses_dynamic_stack 0
		.amdhsa_enable_private_segment 0
		.amdhsa_system_sgpr_workgroup_id_x 1
		.amdhsa_system_sgpr_workgroup_id_y 0
		.amdhsa_system_sgpr_workgroup_id_z 1
		.amdhsa_system_sgpr_workgroup_info 0
		.amdhsa_system_vgpr_workitem_id 0
		.amdhsa_next_free_vgpr 30
		.amdhsa_next_free_sgpr 40
		.amdhsa_named_barrier_count 0
		.amdhsa_reserve_vcc 1
		.amdhsa_float_round_mode_32 0
		.amdhsa_float_round_mode_16_64 0
		.amdhsa_float_denorm_mode_32 3
		.amdhsa_float_denorm_mode_16_64 3
		.amdhsa_fp16_overflow 0
		.amdhsa_memory_ordered 1
		.amdhsa_forward_progress 1
		.amdhsa_inst_pref_size 15
		.amdhsa_round_robin_scheduling 0
		.amdhsa_exception_fp_ieee_invalid_op 0
		.amdhsa_exception_fp_denorm_src 0
		.amdhsa_exception_fp_ieee_div_zero 0
		.amdhsa_exception_fp_ieee_overflow 0
		.amdhsa_exception_fp_ieee_underflow 0
		.amdhsa_exception_fp_ieee_inexact 0
		.amdhsa_exception_int_div_zero 0
	.end_amdhsa_kernel
	.section	.text._ZL30rocblas_trtri_remainder_kernelILi16E19rocblas_complex_numIfEPKS1_PS1_Ev13rocblas_fill_17rocblas_diagonal_iT1_lillT2_lilli,"axG",@progbits,_ZL30rocblas_trtri_remainder_kernelILi16E19rocblas_complex_numIfEPKS1_PS1_Ev13rocblas_fill_17rocblas_diagonal_iT1_lillT2_lilli,comdat
.Lfunc_end11:
	.size	_ZL30rocblas_trtri_remainder_kernelILi16E19rocblas_complex_numIfEPKS1_PS1_Ev13rocblas_fill_17rocblas_diagonal_iT1_lillT2_lilli, .Lfunc_end11-_ZL30rocblas_trtri_remainder_kernelILi16E19rocblas_complex_numIfEPKS1_PS1_Ev13rocblas_fill_17rocblas_diagonal_iT1_lillT2_lilli
                                        ; -- End function
	.set _ZL30rocblas_trtri_remainder_kernelILi16E19rocblas_complex_numIfEPKS1_PS1_Ev13rocblas_fill_17rocblas_diagonal_iT1_lillT2_lilli.num_vgpr, 30
	.set _ZL30rocblas_trtri_remainder_kernelILi16E19rocblas_complex_numIfEPKS1_PS1_Ev13rocblas_fill_17rocblas_diagonal_iT1_lillT2_lilli.num_agpr, 0
	.set _ZL30rocblas_trtri_remainder_kernelILi16E19rocblas_complex_numIfEPKS1_PS1_Ev13rocblas_fill_17rocblas_diagonal_iT1_lillT2_lilli.numbered_sgpr, 40
	.set _ZL30rocblas_trtri_remainder_kernelILi16E19rocblas_complex_numIfEPKS1_PS1_Ev13rocblas_fill_17rocblas_diagonal_iT1_lillT2_lilli.num_named_barrier, 0
	.set _ZL30rocblas_trtri_remainder_kernelILi16E19rocblas_complex_numIfEPKS1_PS1_Ev13rocblas_fill_17rocblas_diagonal_iT1_lillT2_lilli.private_seg_size, 0
	.set _ZL30rocblas_trtri_remainder_kernelILi16E19rocblas_complex_numIfEPKS1_PS1_Ev13rocblas_fill_17rocblas_diagonal_iT1_lillT2_lilli.uses_vcc, 1
	.set _ZL30rocblas_trtri_remainder_kernelILi16E19rocblas_complex_numIfEPKS1_PS1_Ev13rocblas_fill_17rocblas_diagonal_iT1_lillT2_lilli.uses_flat_scratch, 0
	.set _ZL30rocblas_trtri_remainder_kernelILi16E19rocblas_complex_numIfEPKS1_PS1_Ev13rocblas_fill_17rocblas_diagonal_iT1_lillT2_lilli.has_dyn_sized_stack, 0
	.set _ZL30rocblas_trtri_remainder_kernelILi16E19rocblas_complex_numIfEPKS1_PS1_Ev13rocblas_fill_17rocblas_diagonal_iT1_lillT2_lilli.has_recursion, 0
	.set _ZL30rocblas_trtri_remainder_kernelILi16E19rocblas_complex_numIfEPKS1_PS1_Ev13rocblas_fill_17rocblas_diagonal_iT1_lillT2_lilli.has_indirect_call, 0
	.section	.AMDGPU.csdata,"",@progbits
; Kernel info:
; codeLenInByte = 1836
; TotalNumSgprs: 42
; NumVgprs: 30
; ScratchSize: 0
; MemoryBound: 0
; FloatMode: 240
; IeeeMode: 1
; LDSByteSize: 8192 bytes/workgroup (compile time only)
; SGPRBlocks: 0
; VGPRBlocks: 1
; NumSGPRsForWavesPerEU: 42
; NumVGPRsForWavesPerEU: 30
; NamedBarCnt: 0
; Occupancy: 16
; WaveLimiterHint : 0
; COMPUTE_PGM_RSRC2:SCRATCH_EN: 0
; COMPUTE_PGM_RSRC2:USER_SGPR: 2
; COMPUTE_PGM_RSRC2:TRAP_HANDLER: 0
; COMPUTE_PGM_RSRC2:TGID_X_EN: 1
; COMPUTE_PGM_RSRC2:TGID_Y_EN: 0
; COMPUTE_PGM_RSRC2:TGID_Z_EN: 1
; COMPUTE_PGM_RSRC2:TIDIG_COMP_CNT: 0
	.section	.text._ZL18rocblas_trtri_fillILi128E19rocblas_complex_numIdEPS1_EvP15_rocblas_handle13rocblas_fill_ililT1_llii,"axG",@progbits,_ZL18rocblas_trtri_fillILi128E19rocblas_complex_numIdEPS1_EvP15_rocblas_handle13rocblas_fill_ililT1_llii,comdat
	.globl	_ZL18rocblas_trtri_fillILi128E19rocblas_complex_numIdEPS1_EvP15_rocblas_handle13rocblas_fill_ililT1_llii ; -- Begin function _ZL18rocblas_trtri_fillILi128E19rocblas_complex_numIdEPS1_EvP15_rocblas_handle13rocblas_fill_ililT1_llii
	.p2align	8
	.type	_ZL18rocblas_trtri_fillILi128E19rocblas_complex_numIdEPS1_EvP15_rocblas_handle13rocblas_fill_ililT1_llii,@function
_ZL18rocblas_trtri_fillILi128E19rocblas_complex_numIdEPS1_EvP15_rocblas_handle13rocblas_fill_ililT1_llii: ; @_ZL18rocblas_trtri_fillILi128E19rocblas_complex_numIdEPS1_EvP15_rocblas_handle13rocblas_fill_ililT1_llii
; %bb.0:
	s_load_b64 s[2:3], s[0:1], 0x40
	s_bfe_u32 s4, ttmp6, 0x40014
	s_lshr_b32 s5, ttmp7, 16
	s_add_co_i32 s4, s4, 1
	s_bfe_u32 s6, ttmp6, 0x40008
	s_mul_i32 s4, s5, s4
	s_getreg_b32 s17, hwreg(HW_REG_IB_STS2, 6, 4)
	s_add_co_i32 s6, s6, s4
	s_cmp_eq_u32 s17, 0
	s_mov_b32 s19, 0
	s_cselect_b32 s16, s5, s6
	s_wait_kmcnt 0x0
	s_cmp_ge_u32 s16, s3
	s_cbranch_scc1 .LBB12_19
; %bb.1:
	s_clause 0x2
	s_load_b32 s20, s[0:1], 0x18
	s_load_b128 s[12:15], s[0:1], 0x8
	s_load_b256 s[4:11], s[0:1], 0x20
	s_bfe_u32 s18, ttmp6, 0x4000c
	s_and_b32 s22, ttmp6, 15
	s_add_co_i32 s18, s18, 1
	s_ashr_i32 s23, s2, 31
	s_mul_i32 s18, ttmp9, s18
	v_mov_b64_e32 v[6:7], 0
	s_add_co_i32 s22, s22, s18
	s_mov_b64 s[28:29], 0xffffffff
	s_add_nc_u64 s[34:35], s[0:1], 0x48
	s_wait_kmcnt 0x0
	s_ashr_i32 s21, s20, 31
	v_cvt_f32_u32_e32 v1, s14
	s_lshl_b64 s[24:25], s[8:9], 4
	s_cmp_eq_u32 s17, 0
	s_cvt_f32_u32 s17, s14
	s_cselect_b32 s18, ttmp9, s22
	v_rcp_iflag_f32_e32 v1, v1
	s_lshl_b64 s[8:9], s[18:19], 7
	s_cvt_f32_u32 s18, s15
	v_or_b32_e32 v0, s8, v0
	s_add_co_i32 s8, s13, -2
	s_mov_b32 s22, s2
	s_fmamk_f32 s17, s18, 0x4f800000, s17
	v_mul_f32_e32 v1, 0x4f7ffffe, v1
	v_cvt_f64_i32_e32 v[2:3], s8
	s_sub_co_i32 s8, 0, s14
	v_s_rcp_f32 s17, s17
	s_add_nc_u64 s[6:7], s[6:7], s[24:25]
	v_cvt_u32_f32_e32 v5, v1
	v_mov_b32_e32 v1, s9
	s_add_co_i32 s24, s13, -1
	s_sub_nc_u64 s[36:37], 0, s[14:15]
	s_ashr_i32 s25, s24, 31
	v_mul_lo_u32 v4, s8, v5
	s_mul_f32 s17, s17, 0x5f7ffffc
	s_mul_u64 s[8:9], s[14:15], s[22:23]
	s_ashr_i32 s23, s13, 31
	s_mov_b32 s22, s13
	s_mul_f32 s13, s17, 0x2f800000
	v_cmp_gt_u64_e64 s2, s[8:9], v[0:1]
	s_mul_u64 s[26:27], s[24:25], s[22:23]
	s_delay_alu instid0(SALU_CYCLE_1)
	s_trunc_f32 s13, s13
	s_lshl_b64 s[24:25], s[26:27], 2
	v_mul_hi_u32 v8, v5, v4
	v_mov_b32_e32 v4, 0
	s_fmamk_f32 s17, s13, 0xcf800000, s17
	s_cvt_u32_f32 s31, s13
	s_add_nc_u64 s[24:25], s[24:25], -7
	s_lshr_b64 s[26:27], s[26:27], 1
	s_cvt_u32_f32 s30, s17
	s_delay_alu instid0(VALU_DEP_2)
	v_add_nc_u32_e32 v16, v5, v8
	s_branch .LBB12_3
.LBB12_2:                               ;   in Loop: Header=BB12_3 Depth=1
	s_or_b32 exec_lo, exec_lo, s1
	s_add_co_i32 s16, s16, 0x10000
	s_delay_alu instid0(SALU_CYCLE_1)
	s_cmp_lt_u32 s16, s3
	s_cbranch_scc0 .LBB12_19
.LBB12_3:                               ; =>This Loop Header: Depth=1
                                        ;     Child Loop BB12_6 Depth 2
	s_and_saveexec_b32 s1, s2
	s_cbranch_execz .LBB12_2
; %bb.4:                                ;   in Loop: Header=BB12_3 Depth=1
	s_clause 0x1
	s_load_b32 s0, s[34:35], 0xc
	s_load_b32 s18, s[34:35], 0x0
	s_mov_b32 s17, s19
	v_mov_b64_e32 v[8:9], v[0:1]
	s_mul_u64 s[38:39], s[10:11], s[16:17]
	s_mov_b32 s41, s19
	s_lshl_b64 s[38:39], s[38:39], 4
	s_mov_b32 s13, 0
	s_add_nc_u64 s[38:39], s[6:7], s[38:39]
	s_wait_kmcnt 0x0
	s_and_b32 s40, s0, 0xffff
	s_delay_alu instid0(SALU_CYCLE_1)
	s_mul_u64 s[40:41], s[40:41], s[18:19]
	s_branch .LBB12_6
.LBB12_5:                               ;   in Loop: Header=BB12_6 Depth=2
	v_add_nc_u64_e32 v[8:9], s[40:41], v[8:9]
	s_delay_alu instid0(VALU_DEP_1)
	v_cmp_le_u64_e32 vcc_lo, s[8:9], v[8:9]
	s_or_b32 s13, vcc_lo, s13
	s_wait_xcnt 0x0
	s_and_not1_b32 exec_lo, exec_lo, s13
	s_cbranch_execz .LBB12_2
.LBB12_6:                               ;   Parent Loop BB12_3 Depth=1
                                        ; =>  This Inner Loop Header: Depth=2
	v_or_b32_e32 v5, s15, v9
                                        ; implicit-def: $vgpr10_vgpr11
	s_mov_b32 s0, exec_lo
	s_delay_alu instid0(VALU_DEP_1)
	v_cmpx_ne_u64_e32 0, v[4:5]
	s_xor_b32 s17, exec_lo, s0
	s_cbranch_execz .LBB12_8
; %bb.7:                                ;   in Loop: Header=BB12_6 Depth=2
	s_mul_u64 s[42:43], s[36:37], s[30:31]
	v_dual_mov_b32 v10, v8 :: v_dual_mov_b32 v11, v4
	s_mul_hi_u32 s45, s30, s43
	s_mul_i32 s44, s30, s43
	s_mul_hi_u32 s18, s30, s42
	s_mul_hi_u32 s0, s31, s42
	s_add_nc_u64 s[44:45], s[18:19], s[44:45]
	s_mul_i32 s18, s31, s42
	s_mul_hi_u32 s33, s31, s43
	s_add_co_u32 s18, s44, s18
	s_add_co_ci_u32 s18, s45, s0
	s_add_co_ci_u32 s45, s33, 0
	s_mul_i32 s44, s31, s43
	v_dual_mov_b32 v12, v9 :: v_dual_mov_b32 v13, v4
	s_add_nc_u64 s[42:43], s[18:19], s[44:45]
	v_mov_b32_e32 v19, v4
	s_add_co_u32 s42, s30, s42
	s_cselect_b32 s0, -1, 0
	s_delay_alu instid0(SALU_CYCLE_1) | instskip(SKIP_1) | instid1(SALU_CYCLE_1)
	s_cmp_lg_u32 s0, 0
	s_add_co_ci_u32 s43, s31, s43
	s_mul_u64 s[44:45], s[36:37], s[42:43]
	s_delay_alu instid0(SALU_CYCLE_1)
	s_mul_hi_u32 s47, s42, s45
	s_mul_i32 s46, s42, s45
	s_mul_hi_u32 s18, s42, s44
	s_mul_i32 s33, s43, s44
	s_add_nc_u64 s[46:47], s[18:19], s[46:47]
	s_mul_hi_u32 s0, s43, s44
	s_mul_hi_u32 s48, s43, s45
	s_add_co_u32 s18, s46, s33
	s_add_co_ci_u32 s18, s47, s0
	s_mul_i32 s44, s43, s45
	s_add_co_ci_u32 s45, s48, 0
	s_delay_alu instid0(SALU_CYCLE_1) | instskip(NEXT) | instid1(SALU_CYCLE_1)
	s_add_nc_u64 s[44:45], s[18:19], s[44:45]
	s_add_co_u32 s0, s42, s44
	s_cselect_b32 s18, -1, 0
	v_mul_hi_u32 v18, v8, s0
	s_cmp_lg_u32 s18, 0
	s_add_co_ci_u32 s18, s43, s45
	s_and_b64 s[42:43], s[0:1], s[28:29]
	v_mul_u64_e32 v[10:11], s[18:19], v[10:11]
	v_mul_u64_e32 v[14:15], s[42:43], v[12:13]
	;; [unrolled: 1-line block ×3, first 2 shown]
	s_delay_alu instid0(VALU_DEP_3) | instskip(NEXT) | instid1(VALU_DEP_1)
	v_add_nc_u64_e32 v[10:11], v[18:19], v[10:11]
	v_add_co_u32 v5, vcc_lo, v10, v14
	s_delay_alu instid0(VALU_DEP_2) | instskip(NEXT) | instid1(VALU_DEP_4)
	v_add_co_ci_u32_e32 v18, vcc_lo, v11, v15, vcc_lo
	v_add_co_ci_u32_e32 v13, vcc_lo, 0, v13, vcc_lo
	s_delay_alu instid0(VALU_DEP_1) | instskip(NEXT) | instid1(VALU_DEP_1)
	v_add_nc_u64_e32 v[10:11], v[18:19], v[12:13]
	v_mul_u64_e32 v[12:13], s[14:15], v[10:11]
	v_add_nc_u64_e32 v[14:15], 2, v[10:11]
	s_delay_alu instid0(VALU_DEP_2) | instskip(NEXT) | instid1(VALU_DEP_3)
	v_sub_nc_u32_e32 v5, v9, v13
	v_sub_co_u32 v12, vcc_lo, v8, v12
	s_delay_alu instid0(VALU_DEP_1) | instskip(NEXT) | instid1(VALU_DEP_3)
	v_sub_co_ci_u32_e64 v19, null, v9, v13, vcc_lo
	v_subrev_co_ci_u32_e64 v5, null, s15, v5, vcc_lo
	s_delay_alu instid0(VALU_DEP_3) | instskip(SKIP_1) | instid1(VALU_DEP_3)
	v_sub_co_u32 v17, s0, v12, s14
	v_cmp_le_u32_e32 vcc_lo, s14, v12
	v_subrev_co_ci_u32_e64 v5, null, 0, v5, s0
	s_delay_alu instid0(VALU_DEP_3) | instskip(SKIP_2) | instid1(VALU_DEP_4)
	v_cmp_le_u32_e64 s0, s14, v17
	v_add_nc_u64_e32 v[12:13], 1, v[10:11]
	v_cndmask_b32_e64 v20, 0, -1, vcc_lo
	v_cmp_eq_u32_e32 vcc_lo, s15, v5
	s_delay_alu instid0(VALU_DEP_4) | instskip(SKIP_1) | instid1(VALU_DEP_1)
	v_cndmask_b32_e64 v17, 0, -1, s0
	v_cmp_le_u32_e64 s0, s15, v5
	v_cndmask_b32_e64 v18, 0, -1, s0
	v_cmp_eq_u32_e64 s0, s15, v19
	s_delay_alu instid0(VALU_DEP_2) | instskip(SKIP_2) | instid1(VALU_DEP_3)
	v_cndmask_b32_e32 v5, v18, v17, vcc_lo
	v_cmp_le_u32_e32 vcc_lo, s15, v19
	v_cndmask_b32_e64 v17, 0, -1, vcc_lo
	v_cmp_ne_u32_e32 vcc_lo, 0, v5
	s_delay_alu instid0(VALU_DEP_2) | instskip(SKIP_1) | instid1(VALU_DEP_2)
	v_dual_cndmask_b32 v5, v17, v20, s0 :: v_dual_cndmask_b32 v12, v12, v14, vcc_lo
	v_cndmask_b32_e32 v13, v13, v15, vcc_lo
	v_cmp_ne_u32_e32 vcc_lo, 0, v5
	s_delay_alu instid0(VALU_DEP_2)
	v_dual_cndmask_b32 v11, v11, v13 :: v_dual_cndmask_b32 v10, v10, v12
.LBB12_8:                               ;   in Loop: Header=BB12_6 Depth=2
	s_and_not1_saveexec_b32 s0, s17
	s_cbranch_execz .LBB12_10
; %bb.9:                                ;   in Loop: Header=BB12_6 Depth=2
	v_mul_hi_u32 v5, v8, v16
	s_delay_alu instid0(VALU_DEP_1) | instskip(NEXT) | instid1(VALU_DEP_1)
	v_mul_lo_u32 v10, v5, s14
	v_dual_add_nc_u32 v11, 1, v5 :: v_dual_sub_nc_u32 v10, v8, v10
	s_delay_alu instid0(VALU_DEP_1) | instskip(SKIP_1) | instid1(VALU_DEP_2)
	v_subrev_nc_u32_e32 v12, s14, v10
	v_cmp_le_u32_e32 vcc_lo, s14, v10
	v_dual_cndmask_b32 v10, v10, v12 :: v_dual_cndmask_b32 v5, v5, v11
	s_delay_alu instid0(VALU_DEP_1) | instskip(NEXT) | instid1(VALU_DEP_2)
	v_cmp_le_u32_e32 vcc_lo, s14, v10
	v_add_nc_u32_e32 v11, 1, v5
	s_delay_alu instid0(VALU_DEP_1)
	v_dual_cndmask_b32 v10, v5, v11 :: v_dual_mov_b32 v11, v4
.LBB12_10:                              ;   in Loop: Header=BB12_6 Depth=2
	s_or_b32 exec_lo, exec_lo, s0
	s_delay_alu instid0(VALU_DEP_1) | instskip(SKIP_1) | instid1(VALU_DEP_1)
	v_mul_u64_e32 v[12:13], s[14:15], v[10:11]
	s_cmp_lt_i32 s12, 0x7a
	v_sub_nc_u64_e32 v[12:13], v[8:9], v[12:13]
	s_cbranch_scc1 .LBB12_13
; %bb.11:                               ;   in Loop: Header=BB12_6 Depth=2
	s_mov_b32 s0, 0
	s_cmp_eq_u32 s12, 0x7a
	s_mov_b32 s17, 0
                                        ; implicit-def: $vgpr14_vgpr15
	s_cbranch_scc0 .LBB12_14
; %bb.12:                               ;   in Loop: Header=BB12_6 Depth=2
	s_delay_alu instid0(VALU_DEP_1) | instskip(SKIP_1) | instid1(VALU_DEP_1)
	v_lshlrev_b64_e32 v[14:15], 3, v[12:13]
	s_mov_b32 s17, -1
	v_sub_nc_u64_e32 v[14:15], s[24:25], v[14:15]
	s_delay_alu instid0(VALU_DEP_1) | instskip(NEXT) | instid1(VALU_DEP_2)
	v_cvt_f64_u32_e32 v[18:19], v15
	v_cvt_f64_u32_e32 v[14:15], v14
	s_delay_alu instid0(VALU_DEP_2) | instskip(NEXT) | instid1(VALU_DEP_1)
	v_ldexp_f64 v[18:19], v[18:19], 32
	v_add_f64_e32 v[14:15], v[18:19], v[14:15]
	s_delay_alu instid0(VALU_DEP_1) | instskip(SKIP_1) | instid1(VALU_DEP_1)
	v_cmp_gt_f64_e32 vcc_lo, 0x10000000, v[14:15]
	v_cndmask_b32_e64 v5, 0, 0x100, vcc_lo
	v_ldexp_f64 v[14:15], v[14:15], v5
	v_cndmask_b32_e64 v5, 0, 0xffffff80, vcc_lo
	s_delay_alu instid0(VALU_DEP_2) | instskip(SKIP_1) | instid1(TRANS32_DEP_1)
	v_rsq_f64_e32 v[18:19], v[14:15]
	v_cmp_class_f64_e64 vcc_lo, v[14:15], 0x260
	v_mul_f64_e32 v[20:21], v[14:15], v[18:19]
	v_mul_f64_e32 v[18:19], 0.5, v[18:19]
	s_delay_alu instid0(VALU_DEP_1) | instskip(NEXT) | instid1(VALU_DEP_1)
	v_fma_f64 v[22:23], -v[18:19], v[20:21], 0.5
	v_fmac_f64_e32 v[20:21], v[20:21], v[22:23]
	v_fmac_f64_e32 v[18:19], v[18:19], v[22:23]
	s_delay_alu instid0(VALU_DEP_2) | instskip(NEXT) | instid1(VALU_DEP_1)
	v_fma_f64 v[22:23], -v[20:21], v[20:21], v[14:15]
	v_fmac_f64_e32 v[20:21], v[22:23], v[18:19]
	s_delay_alu instid0(VALU_DEP_1) | instskip(NEXT) | instid1(VALU_DEP_1)
	v_fma_f64 v[22:23], -v[20:21], v[20:21], v[14:15]
	v_fmac_f64_e32 v[20:21], v[22:23], v[18:19]
	s_delay_alu instid0(VALU_DEP_1) | instskip(SKIP_1) | instid1(VALU_DEP_2)
	v_ldexp_f64 v[18:19], v[20:21], v5
	v_mul_u64_e32 v[20:21], s[4:5], v[10:11]
	v_dual_cndmask_b32 v15, v19, v15 :: v_dual_cndmask_b32 v14, v18, v14
	s_delay_alu instid0(VALU_DEP_2) | instskip(NEXT) | instid1(VALU_DEP_2)
	v_lshl_add_u64 v[20:21], v[20:21], 4, s[38:39]
	v_fma_f64 v[14:15], v[14:15], 0.5, -0.5
	s_delay_alu instid0(VALU_DEP_1) | instskip(NEXT) | instid1(VALU_DEP_1)
	v_floor_f64_e32 v[14:15], v[14:15]
	v_add_f64_e64 v[14:15], v[2:3], -v[14:15]
	s_delay_alu instid0(VALU_DEP_1) | instskip(NEXT) | instid1(VALU_DEP_1)
	v_trunc_f64_e32 v[14:15], v[14:15]
	v_ldexp_f64 v[18:19], v[14:15], 0xffffffe0
	s_delay_alu instid0(VALU_DEP_1) | instskip(NEXT) | instid1(VALU_DEP_1)
	v_floor_f64_e32 v[18:19], v[18:19]
	v_fmac_f64_e32 v[14:15], 0xc1f00000, v[18:19]
	s_delay_alu instid0(VALU_DEP_1) | instskip(SKIP_1) | instid1(VALU_DEP_1)
	v_cvt_u32_f64_e32 v14, v[14:15]
	v_cvt_u32_f64_e32 v15, v[18:19]
	v_sub_nc_u64_e32 v[18:19], s[22:23], v[14:15]
	v_mul_u64_e32 v[24:25], s[20:21], v[14:15]
	s_delay_alu instid0(VALU_DEP_2) | instskip(NEXT) | instid1(VALU_DEP_1)
	v_add_nc_u64_e32 v[22:23], -1, v[18:19]
	v_mul_u64_e32 v[18:19], v[22:23], v[18:19]
	v_sub_nc_u64_e64 v[22:23], v[12:13], s[26:27]
	s_delay_alu instid0(VALU_DEP_4) | instskip(NEXT) | instid1(VALU_DEP_1)
	v_lshl_add_u64 v[20:21], v[24:25], 4, v[20:21]
	v_lshl_add_u64 v[20:21], v[22:23], 4, v[20:21]
	s_delay_alu instid0(VALU_DEP_1) | instskip(SKIP_1) | instid1(VALU_DEP_1)
	v_lshl_add_u64 v[14:15], v[14:15], 4, v[20:21]
	v_lshlrev_b64_e32 v[18:19], 3, v[18:19]
	v_and_b32_e32 v18, -16, v18
	s_delay_alu instid0(VALU_DEP_1) | instskip(NEXT) | instid1(VALU_DEP_1)
	v_add_nc_u64_e32 v[18:19], v[14:15], v[18:19]
	v_add_nc_u64_e32 v[14:15], 16, v[18:19]
	global_store_b64 v[18:19], v[6:7], off offset:16
	s_branch .LBB12_14
.LBB12_13:                              ;   in Loop: Header=BB12_6 Depth=2
	s_mov_b32 s0, -1
	s_mov_b32 s17, 0
                                        ; implicit-def: $vgpr14_vgpr15
.LBB12_14:                              ;   in Loop: Header=BB12_6 Depth=2
	s_and_b32 vcc_lo, exec_lo, s0
	s_cbranch_vccz .LBB12_17
; %bb.15:                               ;   in Loop: Header=BB12_6 Depth=2
	s_cmp_eq_u32 s12, 0x79
                                        ; implicit-def: $vgpr14_vgpr15
	s_cbranch_scc0 .LBB12_17
; %bb.16:                               ;   in Loop: Header=BB12_6 Depth=2
	v_lshlrev_b64_e32 v[14:15], 3, v[12:13]
	v_mul_u64_e32 v[10:11], s[4:5], v[10:11]
	s_mov_b32 s17, -1
	s_wait_xcnt 0x0
	s_delay_alu instid0(VALU_DEP_2) | instskip(NEXT) | instid1(VALU_DEP_3)
	v_cvt_f64_u32_e32 v[18:19], v15
	v_or_b32_e32 v5, 1, v14
	s_delay_alu instid0(VALU_DEP_1) | instskip(NEXT) | instid1(VALU_DEP_4)
	v_cvt_f64_u32_e32 v[14:15], v5
	v_lshl_add_u64 v[10:11], v[10:11], 4, s[38:39]
	s_delay_alu instid0(VALU_DEP_4) | instskip(NEXT) | instid1(VALU_DEP_1)
	v_ldexp_f64 v[18:19], v[18:19], 32
	v_add_f64_e32 v[14:15], v[18:19], v[14:15]
	s_delay_alu instid0(VALU_DEP_1) | instskip(SKIP_1) | instid1(VALU_DEP_1)
	v_cmp_gt_f64_e32 vcc_lo, 0x10000000, v[14:15]
	v_cndmask_b32_e64 v5, 0, 0x100, vcc_lo
	v_ldexp_f64 v[14:15], v[14:15], v5
	v_cndmask_b32_e64 v5, 0, 0xffffff80, vcc_lo
	s_delay_alu instid0(VALU_DEP_2) | instskip(SKIP_1) | instid1(TRANS32_DEP_1)
	v_rsq_f64_e32 v[18:19], v[14:15]
	v_cmp_class_f64_e64 vcc_lo, v[14:15], 0x260
	v_mul_f64_e32 v[20:21], v[14:15], v[18:19]
	v_mul_f64_e32 v[18:19], 0.5, v[18:19]
	s_delay_alu instid0(VALU_DEP_1) | instskip(NEXT) | instid1(VALU_DEP_1)
	v_fma_f64 v[22:23], -v[18:19], v[20:21], 0.5
	v_fmac_f64_e32 v[20:21], v[20:21], v[22:23]
	v_fmac_f64_e32 v[18:19], v[18:19], v[22:23]
	s_delay_alu instid0(VALU_DEP_2) | instskip(NEXT) | instid1(VALU_DEP_1)
	v_fma_f64 v[22:23], -v[20:21], v[20:21], v[14:15]
	v_fmac_f64_e32 v[20:21], v[22:23], v[18:19]
	s_delay_alu instid0(VALU_DEP_1) | instskip(NEXT) | instid1(VALU_DEP_1)
	v_fma_f64 v[22:23], -v[20:21], v[20:21], v[14:15]
	v_fmac_f64_e32 v[20:21], v[22:23], v[18:19]
	s_delay_alu instid0(VALU_DEP_1) | instskip(NEXT) | instid1(VALU_DEP_1)
	v_ldexp_f64 v[18:19], v[20:21], v5
	v_dual_cndmask_b32 v15, v19, v15 :: v_dual_cndmask_b32 v14, v18, v14
	s_delay_alu instid0(VALU_DEP_1) | instskip(NEXT) | instid1(VALU_DEP_1)
	v_add_f64_e32 v[14:15], -1.0, v[14:15]
	v_mul_f64_e32 v[14:15], 0.5, v[14:15]
	s_delay_alu instid0(VALU_DEP_1) | instskip(NEXT) | instid1(VALU_DEP_1)
	v_trunc_f64_e32 v[14:15], v[14:15]
	v_ldexp_f64 v[18:19], v[14:15], 0xffffffe0
	s_delay_alu instid0(VALU_DEP_1) | instskip(NEXT) | instid1(VALU_DEP_1)
	v_floor_f64_e32 v[18:19], v[18:19]
	v_fmac_f64_e32 v[14:15], 0xc1f00000, v[18:19]
	s_delay_alu instid0(VALU_DEP_1) | instskip(SKIP_1) | instid1(VALU_DEP_2)
	v_cvt_u32_f64_e32 v14, v[14:15]
	v_cvt_u32_f64_e32 v15, v[18:19]
	v_mad_nc_u64_u32 v[18:19], s20, v14, s[20:21]
	s_delay_alu instid0(VALU_DEP_2) | instskip(SKIP_1) | instid1(VALU_DEP_3)
	v_mad_nc_u64_u32 v[20:21], v14, v14, v[14:15]
	v_mul_lo_u32 v5, v14, v15
	v_mad_u32 v14, s21, v14, v19
	s_delay_alu instid0(VALU_DEP_2) | instskip(NEXT) | instid1(VALU_DEP_2)
	v_add3_u32 v21, v5, v21, v5
	v_mad_u32 v19, s20, v15, v14
	s_delay_alu instid0(VALU_DEP_2) | instskip(NEXT) | instid1(VALU_DEP_1)
	v_lshrrev_b64 v[14:15], 1, v[20:21]
	v_sub_nc_u64_e32 v[12:13], v[12:13], v[14:15]
	s_delay_alu instid0(VALU_DEP_3) | instskip(NEXT) | instid1(VALU_DEP_1)
	v_lshl_add_u64 v[10:11], v[18:19], 4, v[10:11]
	v_lshl_add_u64 v[14:15], v[12:13], 4, v[10:11]
	global_store_b64 v[14:15], v[6:7], off
.LBB12_17:                              ;   in Loop: Header=BB12_6 Depth=2
	s_and_b32 vcc_lo, exec_lo, s17
	s_cbranch_vccz .LBB12_5
; %bb.18:                               ;   in Loop: Header=BB12_6 Depth=2
	global_store_b64 v[14:15], v[6:7], off offset:8
	s_branch .LBB12_5
.LBB12_19:
	s_endpgm
	.section	.rodata,"a",@progbits
	.p2align	6, 0x0
	.amdhsa_kernel _ZL18rocblas_trtri_fillILi128E19rocblas_complex_numIdEPS1_EvP15_rocblas_handle13rocblas_fill_ililT1_llii
		.amdhsa_group_segment_fixed_size 0
		.amdhsa_private_segment_fixed_size 0
		.amdhsa_kernarg_size 328
		.amdhsa_user_sgpr_count 2
		.amdhsa_user_sgpr_dispatch_ptr 0
		.amdhsa_user_sgpr_queue_ptr 0
		.amdhsa_user_sgpr_kernarg_segment_ptr 1
		.amdhsa_user_sgpr_dispatch_id 0
		.amdhsa_user_sgpr_kernarg_preload_length 0
		.amdhsa_user_sgpr_kernarg_preload_offset 0
		.amdhsa_user_sgpr_private_segment_size 0
		.amdhsa_wavefront_size32 1
		.amdhsa_uses_dynamic_stack 0
		.amdhsa_enable_private_segment 0
		.amdhsa_system_sgpr_workgroup_id_x 1
		.amdhsa_system_sgpr_workgroup_id_y 0
		.amdhsa_system_sgpr_workgroup_id_z 1
		.amdhsa_system_sgpr_workgroup_info 0
		.amdhsa_system_vgpr_workitem_id 0
		.amdhsa_next_free_vgpr 26
		.amdhsa_next_free_sgpr 49
		.amdhsa_named_barrier_count 0
		.amdhsa_reserve_vcc 1
		.amdhsa_float_round_mode_32 0
		.amdhsa_float_round_mode_16_64 0
		.amdhsa_float_denorm_mode_32 3
		.amdhsa_float_denorm_mode_16_64 3
		.amdhsa_fp16_overflow 0
		.amdhsa_memory_ordered 1
		.amdhsa_forward_progress 1
		.amdhsa_inst_pref_size 15
		.amdhsa_round_robin_scheduling 0
		.amdhsa_exception_fp_ieee_invalid_op 0
		.amdhsa_exception_fp_denorm_src 0
		.amdhsa_exception_fp_ieee_div_zero 0
		.amdhsa_exception_fp_ieee_overflow 0
		.amdhsa_exception_fp_ieee_underflow 0
		.amdhsa_exception_fp_ieee_inexact 0
		.amdhsa_exception_int_div_zero 0
	.end_amdhsa_kernel
	.section	.text._ZL18rocblas_trtri_fillILi128E19rocblas_complex_numIdEPS1_EvP15_rocblas_handle13rocblas_fill_ililT1_llii,"axG",@progbits,_ZL18rocblas_trtri_fillILi128E19rocblas_complex_numIdEPS1_EvP15_rocblas_handle13rocblas_fill_ililT1_llii,comdat
.Lfunc_end12:
	.size	_ZL18rocblas_trtri_fillILi128E19rocblas_complex_numIdEPS1_EvP15_rocblas_handle13rocblas_fill_ililT1_llii, .Lfunc_end12-_ZL18rocblas_trtri_fillILi128E19rocblas_complex_numIdEPS1_EvP15_rocblas_handle13rocblas_fill_ililT1_llii
                                        ; -- End function
	.set _ZL18rocblas_trtri_fillILi128E19rocblas_complex_numIdEPS1_EvP15_rocblas_handle13rocblas_fill_ililT1_llii.num_vgpr, 26
	.set _ZL18rocblas_trtri_fillILi128E19rocblas_complex_numIdEPS1_EvP15_rocblas_handle13rocblas_fill_ililT1_llii.num_agpr, 0
	.set _ZL18rocblas_trtri_fillILi128E19rocblas_complex_numIdEPS1_EvP15_rocblas_handle13rocblas_fill_ililT1_llii.numbered_sgpr, 49
	.set _ZL18rocblas_trtri_fillILi128E19rocblas_complex_numIdEPS1_EvP15_rocblas_handle13rocblas_fill_ililT1_llii.num_named_barrier, 0
	.set _ZL18rocblas_trtri_fillILi128E19rocblas_complex_numIdEPS1_EvP15_rocblas_handle13rocblas_fill_ililT1_llii.private_seg_size, 0
	.set _ZL18rocblas_trtri_fillILi128E19rocblas_complex_numIdEPS1_EvP15_rocblas_handle13rocblas_fill_ililT1_llii.uses_vcc, 1
	.set _ZL18rocblas_trtri_fillILi128E19rocblas_complex_numIdEPS1_EvP15_rocblas_handle13rocblas_fill_ililT1_llii.uses_flat_scratch, 0
	.set _ZL18rocblas_trtri_fillILi128E19rocblas_complex_numIdEPS1_EvP15_rocblas_handle13rocblas_fill_ililT1_llii.has_dyn_sized_stack, 0
	.set _ZL18rocblas_trtri_fillILi128E19rocblas_complex_numIdEPS1_EvP15_rocblas_handle13rocblas_fill_ililT1_llii.has_recursion, 0
	.set _ZL18rocblas_trtri_fillILi128E19rocblas_complex_numIdEPS1_EvP15_rocblas_handle13rocblas_fill_ililT1_llii.has_indirect_call, 0
	.section	.AMDGPU.csdata,"",@progbits
; Kernel info:
; codeLenInByte = 1864
; TotalNumSgprs: 51
; NumVgprs: 26
; ScratchSize: 0
; MemoryBound: 0
; FloatMode: 240
; IeeeMode: 1
; LDSByteSize: 0 bytes/workgroup (compile time only)
; SGPRBlocks: 0
; VGPRBlocks: 1
; NumSGPRsForWavesPerEU: 51
; NumVGPRsForWavesPerEU: 26
; NamedBarCnt: 0
; Occupancy: 16
; WaveLimiterHint : 0
; COMPUTE_PGM_RSRC2:SCRATCH_EN: 0
; COMPUTE_PGM_RSRC2:USER_SGPR: 2
; COMPUTE_PGM_RSRC2:TRAP_HANDLER: 0
; COMPUTE_PGM_RSRC2:TGID_X_EN: 1
; COMPUTE_PGM_RSRC2:TGID_Y_EN: 0
; COMPUTE_PGM_RSRC2:TGID_Z_EN: 1
; COMPUTE_PGM_RSRC2:TIDIG_COMP_CNT: 0
	.section	.text._ZL26rocblas_trtri_small_kernelILi16E19rocblas_complex_numIdEPKS1_PS1_Ev13rocblas_fill_17rocblas_diagonal_iT1_lillT2_lilli,"axG",@progbits,_ZL26rocblas_trtri_small_kernelILi16E19rocblas_complex_numIdEPKS1_PS1_Ev13rocblas_fill_17rocblas_diagonal_iT1_lillT2_lilli,comdat
	.globl	_ZL26rocblas_trtri_small_kernelILi16E19rocblas_complex_numIdEPKS1_PS1_Ev13rocblas_fill_17rocblas_diagonal_iT1_lillT2_lilli ; -- Begin function _ZL26rocblas_trtri_small_kernelILi16E19rocblas_complex_numIdEPKS1_PS1_Ev13rocblas_fill_17rocblas_diagonal_iT1_lillT2_lilli
	.p2align	8
	.type	_ZL26rocblas_trtri_small_kernelILi16E19rocblas_complex_numIdEPKS1_PS1_Ev13rocblas_fill_17rocblas_diagonal_iT1_lillT2_lilli,@function
_ZL26rocblas_trtri_small_kernelILi16E19rocblas_complex_numIdEPKS1_PS1_Ev13rocblas_fill_17rocblas_diagonal_iT1_lillT2_lilli: ; @_ZL26rocblas_trtri_small_kernelILi16E19rocblas_complex_numIdEPKS1_PS1_Ev13rocblas_fill_17rocblas_diagonal_iT1_lillT2_lilli
; %bb.0:
	s_load_b32 s23, s[0:1], 0x60
	s_bfe_u32 s2, ttmp6, 0x40014
	s_lshr_b32 s3, ttmp7, 16
	s_add_co_i32 s2, s2, 1
	s_bfe_u32 s4, ttmp6, 0x40008
	s_mul_i32 s2, s3, s2
	s_getreg_b32 s26, hwreg(HW_REG_IB_STS2, 6, 4)
	s_add_co_i32 s4, s4, s2
	s_cmp_eq_u32 s26, 0
	s_cselect_b32 s2, s3, s4
	s_mov_b32 s3, 0
	s_wait_kmcnt 0x0
	s_cmp_ge_u32 s2, s23
	s_cbranch_scc1 .LBB13_43
; %bb.1:
	s_clause 0x5
	s_load_b32 s28, s[0:1], 0x20
	s_load_b32 s24, s[0:1], 0x48
	s_load_b96 s[20:22], s[0:1], 0x0
	s_load_b256 s[4:11], s[0:1], 0x28
	s_load_b128 s[16:19], s[0:1], 0x10
	s_load_b128 s[12:15], s[0:1], 0x50
	s_wait_xcnt 0x0
	s_bfe_u32 s1, ttmp6, 0x4000c
	s_and_b32 s0, ttmp6, 15
	s_add_co_i32 s1, s1, 1
	s_mov_b32 s31, s3
	s_mul_i32 s1, ttmp9, s1
	s_mov_b32 s35, s3
	s_add_co_i32 s1, s0, s1
	v_mov_b32_e32 v11, 0
	s_wait_kmcnt 0x0
	s_ashr_i32 s29, s28, 31
	s_ashr_i32 s25, s24, 31
	s_cmp_eq_u32 s26, 0
	v_mul_lo_u32 v2, v0, s22
	s_cselect_b32 s30, ttmp9, s1
	s_cmp_gt_i32 s22, 0
	s_mul_u64 s[6:7], s[6:7], s[30:31]
	s_cselect_b32 s26, -1, 0
	s_cmp_lg_u32 s20, 0x7a
	s_mul_u64 s[14:15], s[14:15], s[30:31]
	s_cselect_b32 s20, -1, 0
	s_add_co_i32 s34, s22, -1
	s_delay_alu instid0(SALU_CYCLE_1)
	v_dual_lshlrev_b32 v10, 4, v0 :: v_dual_sub_nc_u32 v1, s34, v0
	s_cmp_lg_u32 s21, 0x84
	s_mul_u64 s[36:37], s[28:29], s[34:35]
	s_cselect_b32 s21, -1, 0
	s_lshl_b64 s[6:7], s[6:7], 4
	s_lshl_b64 s[18:19], s[18:19], 4
	;; [unrolled: 1-line block ×3, first 2 shown]
	s_add_nc_u64 s[38:39], s[6:7], s[18:19]
	v_lshlrev_b32_e32 v1, 4, v1
	s_add_nc_u64 s[6:7], s[38:39], s[36:37]
	s_lshl_b64 s[14:15], s[14:15], 4
	s_add_nc_u64 s[6:7], s[16:17], s[6:7]
	s_add_nc_u64 s[16:17], s[16:17], s[38:39]
	s_lshl_b64 s[10:11], s[10:11], 4
	v_add_nc_u64_e32 v[14:15], s[16:17], v[10:11]
	s_mul_u64 s[16:17], s[24:25], s[34:35]
	s_add_nc_u64 s[10:11], s[14:15], s[10:11]
	s_lshl_b64 s[16:17], s[16:17], 4
	s_lshl_b32 s27, s22, 4
	s_add_nc_u64 s[14:15], s[10:11], s[16:17]
	v_add_nc_u64_e32 v[12:13], s[6:7], v[10:11]
	s_add_nc_u64 s[14:15], s[8:9], s[14:15]
	s_add_nc_u64 s[8:9], s[8:9], s[10:11]
	v_add_nc_u64_e32 v[16:17], s[14:15], v[10:11]
	v_add_nc_u64_e32 v[18:19], s[8:9], v[10:11]
	v_cmp_gt_u32_e64 s0, s22, v0
	v_add_lshl_u32 v20, v2, v0, 4
	v_dual_add_nc_u32 v21, 1, v0 :: v_dual_add_nc_u32 v22, s27, v10
	s_lshl_b64 s[6:7], s[28:29], 4
	s_lshl_b64 s[8:9], s[24:25], 4
	;; [unrolled: 1-line block ×3, first 2 shown]
	s_sub_nc_u64 s[18:19], 0, s[6:7]
	s_add_co_i32 s16, s27, 16
	s_lshl_b64 s[10:11], s[12:13], 4
	s_sub_nc_u64 s[12:13], 0, s[8:9]
	s_branch .LBB13_4
.LBB13_2:                               ;   in Loop: Header=BB13_4 Depth=1
	s_or_b32 exec_lo, exec_lo, s1
.LBB13_3:                               ;   in Loop: Header=BB13_4 Depth=1
	s_add_co_i32 s2, s2, 0x10000
	s_delay_alu instid0(SALU_CYCLE_1)
	s_cmp_lt_u32 s2, s23
	s_cbranch_scc0 .LBB13_43
.LBB13_4:                               ; =>This Loop Header: Depth=1
                                        ;     Child Loop BB13_8 Depth 2
                                        ;     Child Loop BB13_12 Depth 2
	;; [unrolled: 1-line block ×3, first 2 shown]
                                        ;       Child Loop BB13_31 Depth 3
                                        ;     Child Loop BB13_38 Depth 2
                                        ;     Child Loop BB13_42 Depth 2
	s_and_not1_b32 vcc_lo, exec_lo, s26
	s_cbranch_vccnz .LBB13_3
; %bb.5:                                ;   in Loop: Header=BB13_4 Depth=1
	s_and_saveexec_b32 s1, s0
	s_cbranch_execz .LBB13_13
; %bb.6:                                ;   in Loop: Header=BB13_4 Depth=1
	s_mul_u64 s[14:15], s[4:5], s[2:3]
	s_and_not1_b32 vcc_lo, exec_lo, s20
	s_mov_b32 s17, -1
	s_cbranch_vccnz .LBB13_10
; %bb.7:                                ;   in Loop: Header=BB13_4 Depth=1
	v_add_nc_u64_e32 v[2:3], s[14:15], v[12:13]
	v_mov_b32_e32 v4, v1
	s_mov_b32 s17, 0
	s_mov_b32 s24, s22
.LBB13_8:                               ;   Parent Loop BB13_4 Depth=1
                                        ; =>  This Inner Loop Header: Depth=2
	global_load_b128 v[6:9], v[2:3], off
	s_add_co_i32 s24, s24, -1
	s_wait_xcnt 0x0
	v_add_nc_u64_e32 v[2:3], s[18:19], v[2:3]
	v_cmp_le_u32_e32 vcc_lo, s24, v0
	s_or_b32 s17, vcc_lo, s17
	s_wait_loadcnt 0x0
	ds_store_2addr_b64 v4, v[6:7], v[8:9] offset1:1
	v_add_nc_u32_e32 v4, s27, v4
	s_and_not1_b32 exec_lo, exec_lo, s17
	s_cbranch_execnz .LBB13_8
; %bb.9:                                ;   in Loop: Header=BB13_4 Depth=1
	s_or_b32 exec_lo, exec_lo, s17
	s_mov_b32 s17, 0
.LBB13_10:                              ;   in Loop: Header=BB13_4 Depth=1
	s_delay_alu instid0(SALU_CYCLE_1)
	s_and_b32 vcc_lo, exec_lo, s17
	s_cbranch_vccz .LBB13_13
; %bb.11:                               ;   in Loop: Header=BB13_4 Depth=1
	v_add_nc_u64_e32 v[2:3], s[14:15], v[14:15]
	v_dual_mov_b32 v4, v10 :: v_dual_mov_b32 v5, v21
	s_mov_b32 s14, 0
.LBB13_12:                              ;   Parent Loop BB13_4 Depth=1
                                        ; =>  This Inner Loop Header: Depth=2
	global_load_b128 v[6:9], v[2:3], off
	v_add_nc_u32_e32 v5, -1, v5
	s_wait_xcnt 0x0
	v_add_nc_u64_e32 v[2:3], s[6:7], v[2:3]
	s_wait_loadcnt 0x0
	ds_store_2addr_b64 v4, v[6:7], v[8:9] offset1:1
	v_add_nc_u32_e32 v4, s27, v4
	v_cmp_eq_u32_e32 vcc_lo, 0, v5
	s_or_b32 s14, vcc_lo, s14
	s_delay_alu instid0(SALU_CYCLE_1)
	s_and_not1_b32 exec_lo, exec_lo, s14
	s_cbranch_execnz .LBB13_12
.LBB13_13:                              ;   in Loop: Header=BB13_4 Depth=1
	s_or_b32 exec_lo, exec_lo, s1
	s_wait_dscnt 0x0
	; wave barrier
	s_and_saveexec_b32 s14, s0
	s_cbranch_execz .LBB13_24
; %bb.14:                               ;   in Loop: Header=BB13_4 Depth=1
	s_and_not1_b32 vcc_lo, exec_lo, s21
	s_cbranch_vccnz .LBB13_22
; %bb.15:                               ;   in Loop: Header=BB13_4 Depth=1
	ds_load_b128 v[2:5], v20
	v_mov_b64_e32 v[8:9], 0
	v_mov_b64_e32 v[6:7], 1.0
	s_wait_dscnt 0x0
	v_cmp_neq_f64_e32 vcc_lo, 0, v[2:3]
	v_cmp_neq_f64_e64 s1, 0, v[4:5]
	s_or_b32 s15, vcc_lo, s1
	s_delay_alu instid0(SALU_CYCLE_1)
	s_and_saveexec_b32 s1, s15
	s_cbranch_execz .LBB13_21
; %bb.16:                               ;   in Loop: Header=BB13_4 Depth=1
	v_cmp_ngt_f64_e64 s15, |v[2:3]|, |v[4:5]|
                                        ; implicit-def: $vgpr8_vgpr9
	s_and_saveexec_b32 s17, s15
	s_delay_alu instid0(SALU_CYCLE_1)
	s_xor_b32 s15, exec_lo, s17
	s_cbranch_execz .LBB13_18
; %bb.17:                               ;   in Loop: Header=BB13_4 Depth=1
	v_div_scale_f64 v[6:7], null, v[4:5], v[4:5], v[2:3]
	v_div_scale_f64 v[26:27], vcc_lo, v[2:3], v[4:5], v[2:3]
	s_delay_alu instid0(VALU_DEP_2) | instskip(SKIP_1) | instid1(TRANS32_DEP_1)
	v_rcp_f64_e32 v[8:9], v[6:7]
	v_nop
	v_fma_f64 v[24:25], -v[6:7], v[8:9], 1.0
	s_delay_alu instid0(VALU_DEP_1) | instskip(NEXT) | instid1(VALU_DEP_1)
	v_fmac_f64_e32 v[8:9], v[8:9], v[24:25]
	v_fma_f64 v[24:25], -v[6:7], v[8:9], 1.0
	s_delay_alu instid0(VALU_DEP_1) | instskip(NEXT) | instid1(VALU_DEP_1)
	v_fmac_f64_e32 v[8:9], v[8:9], v[24:25]
	v_mul_f64_e32 v[24:25], v[26:27], v[8:9]
	s_delay_alu instid0(VALU_DEP_1) | instskip(NEXT) | instid1(VALU_DEP_1)
	v_fma_f64 v[6:7], -v[6:7], v[24:25], v[26:27]
	v_div_fmas_f64 v[6:7], v[6:7], v[8:9], v[24:25]
	s_delay_alu instid0(VALU_DEP_1) | instskip(NEXT) | instid1(VALU_DEP_1)
	v_div_fixup_f64 v[6:7], v[6:7], v[4:5], v[2:3]
	v_fmac_f64_e32 v[4:5], v[2:3], v[6:7]
	s_delay_alu instid0(VALU_DEP_1) | instskip(NEXT) | instid1(VALU_DEP_1)
	v_div_scale_f64 v[2:3], null, v[4:5], v[4:5], 1.0
	v_rcp_f64_e32 v[8:9], v[2:3]
	v_nop
	s_delay_alu instid0(TRANS32_DEP_1) | instskip(NEXT) | instid1(VALU_DEP_1)
	v_fma_f64 v[24:25], -v[2:3], v[8:9], 1.0
	v_fmac_f64_e32 v[8:9], v[8:9], v[24:25]
	s_delay_alu instid0(VALU_DEP_1) | instskip(NEXT) | instid1(VALU_DEP_1)
	v_fma_f64 v[24:25], -v[2:3], v[8:9], 1.0
	v_fmac_f64_e32 v[8:9], v[8:9], v[24:25]
	v_div_scale_f64 v[24:25], vcc_lo, 1.0, v[4:5], 1.0
	s_delay_alu instid0(VALU_DEP_1) | instskip(NEXT) | instid1(VALU_DEP_1)
	v_mul_f64_e32 v[26:27], v[24:25], v[8:9]
	v_fma_f64 v[2:3], -v[2:3], v[26:27], v[24:25]
	s_delay_alu instid0(VALU_DEP_1) | instskip(NEXT) | instid1(VALU_DEP_1)
	v_div_fmas_f64 v[2:3], v[2:3], v[8:9], v[26:27]
	v_div_fixup_f64 v[8:9], v[2:3], v[4:5], 1.0
                                        ; implicit-def: $vgpr2_vgpr3
	s_delay_alu instid0(VALU_DEP_1)
	v_mul_f64_e32 v[6:7], v[6:7], v[8:9]
	v_xor_b32_e32 v9, 0x80000000, v9
.LBB13_18:                              ;   in Loop: Header=BB13_4 Depth=1
	s_and_not1_saveexec_b32 s15, s15
	s_cbranch_execz .LBB13_20
; %bb.19:                               ;   in Loop: Header=BB13_4 Depth=1
	v_div_scale_f64 v[6:7], null, v[2:3], v[2:3], v[4:5]
	v_div_scale_f64 v[26:27], vcc_lo, v[4:5], v[2:3], v[4:5]
	s_delay_alu instid0(VALU_DEP_2) | instskip(SKIP_1) | instid1(TRANS32_DEP_1)
	v_rcp_f64_e32 v[8:9], v[6:7]
	v_nop
	v_fma_f64 v[24:25], -v[6:7], v[8:9], 1.0
	s_delay_alu instid0(VALU_DEP_1) | instskip(NEXT) | instid1(VALU_DEP_1)
	v_fmac_f64_e32 v[8:9], v[8:9], v[24:25]
	v_fma_f64 v[24:25], -v[6:7], v[8:9], 1.0
	s_delay_alu instid0(VALU_DEP_1) | instskip(NEXT) | instid1(VALU_DEP_1)
	v_fmac_f64_e32 v[8:9], v[8:9], v[24:25]
	v_mul_f64_e32 v[24:25], v[26:27], v[8:9]
	s_delay_alu instid0(VALU_DEP_1) | instskip(NEXT) | instid1(VALU_DEP_1)
	v_fma_f64 v[6:7], -v[6:7], v[24:25], v[26:27]
	v_div_fmas_f64 v[6:7], v[6:7], v[8:9], v[24:25]
	s_delay_alu instid0(VALU_DEP_1) | instskip(NEXT) | instid1(VALU_DEP_1)
	v_div_fixup_f64 v[8:9], v[6:7], v[2:3], v[4:5]
	v_fmac_f64_e32 v[2:3], v[4:5], v[8:9]
	s_delay_alu instid0(VALU_DEP_1) | instskip(NEXT) | instid1(VALU_DEP_1)
	v_div_scale_f64 v[4:5], null, v[2:3], v[2:3], 1.0
	v_rcp_f64_e32 v[6:7], v[4:5]
	v_nop
	s_delay_alu instid0(TRANS32_DEP_1) | instskip(NEXT) | instid1(VALU_DEP_1)
	v_fma_f64 v[24:25], -v[4:5], v[6:7], 1.0
	v_fmac_f64_e32 v[6:7], v[6:7], v[24:25]
	s_delay_alu instid0(VALU_DEP_1) | instskip(NEXT) | instid1(VALU_DEP_1)
	v_fma_f64 v[24:25], -v[4:5], v[6:7], 1.0
	v_fmac_f64_e32 v[6:7], v[6:7], v[24:25]
	v_div_scale_f64 v[24:25], vcc_lo, 1.0, v[2:3], 1.0
	s_delay_alu instid0(VALU_DEP_1) | instskip(NEXT) | instid1(VALU_DEP_1)
	v_mul_f64_e32 v[26:27], v[24:25], v[6:7]
	v_fma_f64 v[4:5], -v[4:5], v[26:27], v[24:25]
	s_delay_alu instid0(VALU_DEP_1) | instskip(NEXT) | instid1(VALU_DEP_1)
	v_div_fmas_f64 v[4:5], v[4:5], v[6:7], v[26:27]
	v_div_fixup_f64 v[6:7], v[4:5], v[2:3], 1.0
	s_delay_alu instid0(VALU_DEP_1)
	v_mul_f64_e64 v[8:9], v[8:9], -v[6:7]
.LBB13_20:                              ;   in Loop: Header=BB13_4 Depth=1
	s_or_b32 exec_lo, exec_lo, s15
.LBB13_21:                              ;   in Loop: Header=BB13_4 Depth=1
	s_delay_alu instid0(SALU_CYCLE_1)
	s_or_b32 exec_lo, exec_lo, s1
	s_branch .LBB13_23
.LBB13_22:                              ;   in Loop: Header=BB13_4 Depth=1
	v_mov_b64_e32 v[8:9], 0
	v_mov_b64_e32 v[6:7], 1.0
.LBB13_23:                              ;   in Loop: Header=BB13_4 Depth=1
	ds_store_b128 v20, v[6:9]
.LBB13_24:                              ;   in Loop: Header=BB13_4 Depth=1
	s_or_b32 exec_lo, exec_lo, s14
	v_mov_b32_e32 v6, v22
	s_mov_b32 s1, 0
	s_mov_b32 s14, 16
	s_wait_dscnt 0x0
	; wave barrier
	s_branch .LBB13_26
.LBB13_25:                              ;   in Loop: Header=BB13_26 Depth=2
	v_add_nc_u32_e32 v6, s27, v6
	s_add_co_i32 s14, s14, s16
	s_cmp_eq_u32 s1, s22
	; wave barrier
	s_cbranch_scc1 .LBB13_35
.LBB13_26:                              ;   Parent Loop BB13_4 Depth=1
                                        ; =>  This Loop Header: Depth=2
                                        ;       Child Loop BB13_31 Depth 3
	v_mov_b64_e32 v[2:3], 0
	v_mov_b64_e32 v[4:5], 0
	s_mul_i32 s15, s1, s22
	s_mov_b32 s17, exec_lo
	v_cmpx_lt_u32_e64 s1, v0
	s_cbranch_execz .LBB13_28
; %bb.27:                               ;   in Loop: Header=BB13_26 Depth=2
	s_lshl_b32 s24, s15, 4
	s_lshl_b32 s25, s1, 4
	v_add_nc_u32_e32 v7, s24, v10
	s_add_co_i32 s25, s25, s24
	s_delay_alu instid0(SALU_CYCLE_1)
	v_mov_b32_e32 v2, s25
	ds_load_b128 v[2:5], v2
	ds_load_b128 v[24:27], v7
	s_wait_dscnt 0x0
	v_mul_f64_e32 v[8:9], v[4:5], v[26:27]
	v_mul_f64_e32 v[26:27], v[2:3], v[26:27]
	s_delay_alu instid0(VALU_DEP_2) | instskip(NEXT) | instid1(VALU_DEP_2)
	v_fma_f64 v[2:3], v[2:3], v[24:25], -v[8:9]
	v_fmac_f64_e32 v[26:27], v[4:5], v[24:25]
	s_delay_alu instid0(VALU_DEP_2) | instskip(NEXT) | instid1(VALU_DEP_2)
	v_add_f64_e32 v[2:3], 0, v[2:3]
	v_add_f64_e32 v[4:5], 0, v[26:27]
.LBB13_28:                              ;   in Loop: Header=BB13_26 Depth=2
	s_or_b32 exec_lo, exec_lo, s17
	s_add_co_i32 s1, s1, 1
	s_delay_alu instid0(SALU_CYCLE_1)
	s_cmp_ge_i32 s1, s22
	; wave barrier
	s_cbranch_scc1 .LBB13_25
; %bb.29:                               ;   in Loop: Header=BB13_26 Depth=2
	v_lshl_add_u32 v7, s15, 4, v10
	v_mov_b32_e32 v8, v6
	s_mov_b32 s15, s14
	s_mov_b32 s17, s1
	s_branch .LBB13_31
.LBB13_30:                              ;   in Loop: Header=BB13_31 Depth=3
	s_or_b32 exec_lo, exec_lo, s24
	v_add_nc_u32_e32 v8, s27, v8
	s_add_co_i32 s17, s17, 1
	s_add_co_i32 s15, s15, 16
	s_cmp_eq_u32 s22, s17
	; wave barrier
	s_cbranch_scc1 .LBB13_25
.LBB13_31:                              ;   Parent Loop BB13_4 Depth=1
                                        ;     Parent Loop BB13_26 Depth=2
                                        ; =>    This Inner Loop Header: Depth=3
	s_mov_b32 s24, exec_lo
	v_cmpx_eq_u32_e64 s17, v0
	s_cbranch_execz .LBB13_33
; %bb.32:                               ;   in Loop: Header=BB13_31 Depth=3
	ds_load_b128 v[24:27], v20
	v_add_f64_e64 v[30:31], -v[2:3], 0
	s_wait_dscnt 0x0
	v_mul_f64_e32 v[28:29], v[4:5], v[26:27]
	v_mul_f64_e32 v[32:33], v[4:5], v[24:25]
	s_delay_alu instid0(VALU_DEP_2) | instskip(NEXT) | instid1(VALU_DEP_2)
	v_fmac_f64_e32 v[28:29], v[30:31], v[24:25]
	v_fma_f64 v[30:31], v[30:31], v[26:27], -v[32:33]
	ds_store_b128 v7, v[28:31]
.LBB13_33:                              ;   in Loop: Header=BB13_31 Depth=3
	s_or_b32 exec_lo, exec_lo, s24
	s_delay_alu instid0(SALU_CYCLE_1)
	s_mov_b32 s24, exec_lo
	s_wait_dscnt 0x0
	; wave barrier
	v_cmpx_lt_u32_e64 s17, v0
	s_cbranch_execz .LBB13_30
; %bb.34:                               ;   in Loop: Header=BB13_31 Depth=3
	v_mov_b32_e32 v9, s15
	ds_load_b128 v[24:27], v8
	ds_load_b128 v[28:31], v9
	s_wait_dscnt 0x0
	v_mul_f64_e32 v[32:33], v[30:31], v[26:27]
	v_mul_f64_e32 v[26:27], v[28:29], v[26:27]
	s_delay_alu instid0(VALU_DEP_2) | instskip(NEXT) | instid1(VALU_DEP_2)
	v_fma_f64 v[28:29], v[28:29], v[24:25], -v[32:33]
	v_fmac_f64_e32 v[26:27], v[30:31], v[24:25]
	s_delay_alu instid0(VALU_DEP_2) | instskip(NEXT) | instid1(VALU_DEP_2)
	v_add_f64_e32 v[2:3], v[2:3], v[28:29]
	v_add_f64_e32 v[4:5], v[4:5], v[26:27]
	s_branch .LBB13_30
.LBB13_35:                              ;   in Loop: Header=BB13_4 Depth=1
	s_and_saveexec_b32 s1, s0
	s_cbranch_execz .LBB13_2
; %bb.36:                               ;   in Loop: Header=BB13_4 Depth=1
	s_mul_u64 s[14:15], s[10:11], s[2:3]
	s_and_not1_b32 vcc_lo, exec_lo, s20
	s_mov_b32 s17, -1
	s_cbranch_vccnz .LBB13_40
; %bb.37:                               ;   in Loop: Header=BB13_4 Depth=1
	v_add_nc_u64_e32 v[2:3], s[14:15], v[16:17]
	v_mov_b32_e32 v4, v1
	s_mov_b32 s17, 0
	s_mov_b32 s24, s22
.LBB13_38:                              ;   Parent Loop BB13_4 Depth=1
                                        ; =>  This Inner Loop Header: Depth=2
	ds_load_2addr_b64 v[6:9], v4 offset1:1
	s_add_co_i32 s24, s24, -1
	v_add_nc_u32_e32 v4, s27, v4
	v_cmp_le_u32_e32 vcc_lo, s24, v0
	s_or_b32 s17, vcc_lo, s17
	s_wait_dscnt 0x0
	global_store_b128 v[2:3], v[6:9], off
	s_wait_xcnt 0x0
	v_add_nc_u64_e32 v[2:3], s[12:13], v[2:3]
	s_and_not1_b32 exec_lo, exec_lo, s17
	s_cbranch_execnz .LBB13_38
; %bb.39:                               ;   in Loop: Header=BB13_4 Depth=1
	s_or_b32 exec_lo, exec_lo, s17
	s_mov_b32 s17, 0
.LBB13_40:                              ;   in Loop: Header=BB13_4 Depth=1
	s_delay_alu instid0(SALU_CYCLE_1)
	s_and_b32 vcc_lo, exec_lo, s17
	s_cbranch_vccz .LBB13_2
; %bb.41:                               ;   in Loop: Header=BB13_4 Depth=1
	v_add_nc_u64_e32 v[2:3], s[14:15], v[18:19]
	v_dual_mov_b32 v4, v10 :: v_dual_mov_b32 v5, v21
	s_mov_b32 s14, 0
.LBB13_42:                              ;   Parent Loop BB13_4 Depth=1
                                        ; =>  This Inner Loop Header: Depth=2
	ds_load_2addr_b64 v[6:9], v4 offset1:1
	v_dual_add_nc_u32 v5, -1, v5 :: v_dual_add_nc_u32 v4, s27, v4
	s_delay_alu instid0(VALU_DEP_1)
	v_cmp_eq_u32_e32 vcc_lo, 0, v5
	s_or_b32 s14, vcc_lo, s14
	s_wait_dscnt 0x0
	global_store_b128 v[2:3], v[6:9], off
	s_wait_xcnt 0x0
	v_add_nc_u64_e32 v[2:3], s[8:9], v[2:3]
	s_and_not1_b32 exec_lo, exec_lo, s14
	s_cbranch_execnz .LBB13_42
	s_branch .LBB13_2
.LBB13_43:
	s_endpgm
	.section	.rodata,"a",@progbits
	.p2align	6, 0x0
	.amdhsa_kernel _ZL26rocblas_trtri_small_kernelILi16E19rocblas_complex_numIdEPKS1_PS1_Ev13rocblas_fill_17rocblas_diagonal_iT1_lillT2_lilli
		.amdhsa_group_segment_fixed_size 4096
		.amdhsa_private_segment_fixed_size 0
		.amdhsa_kernarg_size 100
		.amdhsa_user_sgpr_count 2
		.amdhsa_user_sgpr_dispatch_ptr 0
		.amdhsa_user_sgpr_queue_ptr 0
		.amdhsa_user_sgpr_kernarg_segment_ptr 1
		.amdhsa_user_sgpr_dispatch_id 0
		.amdhsa_user_sgpr_kernarg_preload_length 0
		.amdhsa_user_sgpr_kernarg_preload_offset 0
		.amdhsa_user_sgpr_private_segment_size 0
		.amdhsa_wavefront_size32 1
		.amdhsa_uses_dynamic_stack 0
		.amdhsa_enable_private_segment 0
		.amdhsa_system_sgpr_workgroup_id_x 1
		.amdhsa_system_sgpr_workgroup_id_y 0
		.amdhsa_system_sgpr_workgroup_id_z 1
		.amdhsa_system_sgpr_workgroup_info 0
		.amdhsa_system_vgpr_workitem_id 0
		.amdhsa_next_free_vgpr 34
		.amdhsa_next_free_sgpr 40
		.amdhsa_named_barrier_count 0
		.amdhsa_reserve_vcc 1
		.amdhsa_float_round_mode_32 0
		.amdhsa_float_round_mode_16_64 0
		.amdhsa_float_denorm_mode_32 3
		.amdhsa_float_denorm_mode_16_64 3
		.amdhsa_fp16_overflow 0
		.amdhsa_memory_ordered 1
		.amdhsa_forward_progress 1
		.amdhsa_inst_pref_size 14
		.amdhsa_round_robin_scheduling 0
		.amdhsa_exception_fp_ieee_invalid_op 0
		.amdhsa_exception_fp_denorm_src 0
		.amdhsa_exception_fp_ieee_div_zero 0
		.amdhsa_exception_fp_ieee_overflow 0
		.amdhsa_exception_fp_ieee_underflow 0
		.amdhsa_exception_fp_ieee_inexact 0
		.amdhsa_exception_int_div_zero 0
	.end_amdhsa_kernel
	.section	.text._ZL26rocblas_trtri_small_kernelILi16E19rocblas_complex_numIdEPKS1_PS1_Ev13rocblas_fill_17rocblas_diagonal_iT1_lillT2_lilli,"axG",@progbits,_ZL26rocblas_trtri_small_kernelILi16E19rocblas_complex_numIdEPKS1_PS1_Ev13rocblas_fill_17rocblas_diagonal_iT1_lillT2_lilli,comdat
.Lfunc_end13:
	.size	_ZL26rocblas_trtri_small_kernelILi16E19rocblas_complex_numIdEPKS1_PS1_Ev13rocblas_fill_17rocblas_diagonal_iT1_lillT2_lilli, .Lfunc_end13-_ZL26rocblas_trtri_small_kernelILi16E19rocblas_complex_numIdEPKS1_PS1_Ev13rocblas_fill_17rocblas_diagonal_iT1_lillT2_lilli
                                        ; -- End function
	.set _ZL26rocblas_trtri_small_kernelILi16E19rocblas_complex_numIdEPKS1_PS1_Ev13rocblas_fill_17rocblas_diagonal_iT1_lillT2_lilli.num_vgpr, 34
	.set _ZL26rocblas_trtri_small_kernelILi16E19rocblas_complex_numIdEPKS1_PS1_Ev13rocblas_fill_17rocblas_diagonal_iT1_lillT2_lilli.num_agpr, 0
	.set _ZL26rocblas_trtri_small_kernelILi16E19rocblas_complex_numIdEPKS1_PS1_Ev13rocblas_fill_17rocblas_diagonal_iT1_lillT2_lilli.numbered_sgpr, 40
	.set _ZL26rocblas_trtri_small_kernelILi16E19rocblas_complex_numIdEPKS1_PS1_Ev13rocblas_fill_17rocblas_diagonal_iT1_lillT2_lilli.num_named_barrier, 0
	.set _ZL26rocblas_trtri_small_kernelILi16E19rocblas_complex_numIdEPKS1_PS1_Ev13rocblas_fill_17rocblas_diagonal_iT1_lillT2_lilli.private_seg_size, 0
	.set _ZL26rocblas_trtri_small_kernelILi16E19rocblas_complex_numIdEPKS1_PS1_Ev13rocblas_fill_17rocblas_diagonal_iT1_lillT2_lilli.uses_vcc, 1
	.set _ZL26rocblas_trtri_small_kernelILi16E19rocblas_complex_numIdEPKS1_PS1_Ev13rocblas_fill_17rocblas_diagonal_iT1_lillT2_lilli.uses_flat_scratch, 0
	.set _ZL26rocblas_trtri_small_kernelILi16E19rocblas_complex_numIdEPKS1_PS1_Ev13rocblas_fill_17rocblas_diagonal_iT1_lillT2_lilli.has_dyn_sized_stack, 0
	.set _ZL26rocblas_trtri_small_kernelILi16E19rocblas_complex_numIdEPKS1_PS1_Ev13rocblas_fill_17rocblas_diagonal_iT1_lillT2_lilli.has_recursion, 0
	.set _ZL26rocblas_trtri_small_kernelILi16E19rocblas_complex_numIdEPKS1_PS1_Ev13rocblas_fill_17rocblas_diagonal_iT1_lillT2_lilli.has_indirect_call, 0
	.section	.AMDGPU.csdata,"",@progbits
; Kernel info:
; codeLenInByte = 1756
; TotalNumSgprs: 42
; NumVgprs: 34
; ScratchSize: 0
; MemoryBound: 0
; FloatMode: 240
; IeeeMode: 1
; LDSByteSize: 4096 bytes/workgroup (compile time only)
; SGPRBlocks: 0
; VGPRBlocks: 2
; NumSGPRsForWavesPerEU: 42
; NumVGPRsForWavesPerEU: 34
; NamedBarCnt: 0
; Occupancy: 16
; WaveLimiterHint : 0
; COMPUTE_PGM_RSRC2:SCRATCH_EN: 0
; COMPUTE_PGM_RSRC2:USER_SGPR: 2
; COMPUTE_PGM_RSRC2:TRAP_HANDLER: 0
; COMPUTE_PGM_RSRC2:TGID_X_EN: 1
; COMPUTE_PGM_RSRC2:TGID_Y_EN: 0
; COMPUTE_PGM_RSRC2:TGID_Z_EN: 1
; COMPUTE_PGM_RSRC2:TIDIG_COMP_CNT: 0
	.section	.text._ZL29rocblas_trtri_diagonal_kernelILi16E19rocblas_complex_numIdEPKS1_PS1_Ev13rocblas_fill_17rocblas_diagonal_iT1_lillT2_lilli,"axG",@progbits,_ZL29rocblas_trtri_diagonal_kernelILi16E19rocblas_complex_numIdEPKS1_PS1_Ev13rocblas_fill_17rocblas_diagonal_iT1_lillT2_lilli,comdat
	.globl	_ZL29rocblas_trtri_diagonal_kernelILi16E19rocblas_complex_numIdEPKS1_PS1_Ev13rocblas_fill_17rocblas_diagonal_iT1_lillT2_lilli ; -- Begin function _ZL29rocblas_trtri_diagonal_kernelILi16E19rocblas_complex_numIdEPKS1_PS1_Ev13rocblas_fill_17rocblas_diagonal_iT1_lillT2_lilli
	.p2align	8
	.type	_ZL29rocblas_trtri_diagonal_kernelILi16E19rocblas_complex_numIdEPKS1_PS1_Ev13rocblas_fill_17rocblas_diagonal_iT1_lillT2_lilli,@function
_ZL29rocblas_trtri_diagonal_kernelILi16E19rocblas_complex_numIdEPKS1_PS1_Ev13rocblas_fill_17rocblas_diagonal_iT1_lillT2_lilli: ; @_ZL29rocblas_trtri_diagonal_kernelILi16E19rocblas_complex_numIdEPKS1_PS1_Ev13rocblas_fill_17rocblas_diagonal_iT1_lillT2_lilli
; %bb.0:
	s_load_b32 s33, s[0:1], 0x60
	s_bfe_u32 s2, ttmp6, 0x40014
	s_lshr_b32 s3, ttmp7, 16
	s_add_co_i32 s2, s2, 1
	s_bfe_u32 s5, ttmp6, 0x40008
	s_mul_i32 s4, s3, s2
	s_getreg_b32 s2, hwreg(HW_REG_IB_STS2, 6, 4)
	s_add_co_i32 s5, s5, s4
	s_cmp_eq_u32 s2, 0
	s_mov_b32 s25, 0
	s_cselect_b32 s24, s3, s5
	s_wait_kmcnt 0x0
	s_cmp_ge_u32 s24, s33
	s_cbranch_scc1 .LBB14_90
; %bb.1:
	s_clause 0x5
	s_load_b96 s[4:6], s[0:1], 0x0
	s_load_b128 s[20:23], s[0:1], 0x10
	s_load_b32 s28, s[0:1], 0x20
	s_load_b32 s30, s[0:1], 0x48
	s_load_b256 s[8:15], s[0:1], 0x28
	s_load_b128 s[16:19], s[0:1], 0x50
	s_bfe_u32 s7, ttmp6, 0x4000c
	s_wait_xcnt 0x0
	s_and_b32 s0, ttmp6, 15
	s_add_co_i32 s7, s7, 1
	s_mov_b32 s1, s25
	s_mul_i32 s7, ttmp9, s7
	v_cvt_f32_ubyte0_e32 v6, v0
	s_add_co_i32 s0, s0, s7
	s_mov_b32 s27, s25
	v_dual_mov_b32 v9, 0 :: v_dual_lshlrev_b32 v8, 4, v0
	s_delay_alu instid0(VALU_DEP_1) | instskip(SKIP_4) | instid1(SALU_CYCLE_1)
	v_mov_b32_e32 v11, v9
	s_wait_kmcnt 0x0
	s_ashr_i32 s3, s6, 31
	s_ashr_i32 s31, s30, 31
	s_lshr_b32 s3, s3, 27
	s_add_co_i32 s3, s6, s3
	s_delay_alu instid0(SALU_CYCLE_1) | instskip(NEXT) | instid1(SALU_CYCLE_1)
	s_ashr_i32 s26, s3, 5
	s_cvt_f32_u32 s3, s26
	s_sub_co_i32 s34, 0, s26
	s_delay_alu instid0(SALU_CYCLE_2) | instskip(SKIP_2) | instid1(TRANS32_DEP_1)
	v_rcp_iflag_f32_e32 v1, s3
	s_mov_b32 s3, s25
	v_nop
	v_readfirstlane_b32 s29, v1
	v_mov_b32_e32 v1, v9
	s_mul_f32 s29, s29, 0x4f7ffffe
	s_delay_alu instid0(SALU_CYCLE_3) | instskip(SKIP_1) | instid1(SALU_CYCLE_2)
	s_cvt_u32_f32 s7, s29
	s_ashr_i32 s29, s28, 31
	s_mul_i32 s36, s34, s7
	s_lshl_b64 s[34:35], s[14:15], 4
	s_mul_hi_u32 s14, s7, s36
	s_lshl_b64 s[36:37], s[28:29], 5
	s_add_co_i32 s14, s7, s14
	s_cmp_eq_u32 s2, 0
	s_add_nc_u64 s[40:41], s[12:13], s[34:35]
	s_cselect_b32 s0, ttmp9, s0
	s_mov_b32 s7, s25
	s_mul_hi_u32 s2, s0, s14
	s_mov_b32 s15, s25
	s_mul_i32 s14, s2, s26
	s_add_co_i32 s38, s2, 1
	s_sub_co_i32 s14, s0, s14
	s_delay_alu instid0(SALU_CYCLE_1)
	s_sub_co_i32 s39, s14, s26
	s_cmp_ge_u32 s14, s26
	s_cselect_b32 s2, s38, s2
	s_cselect_b32 s14, s39, s14
	s_add_co_i32 s42, s2, 1
	s_cmp_ge_u32 s14, s26
	s_add_nc_u64 s[38:39], s[36:37], 32
	s_cselect_b32 s2, s42, s2
	s_lshl_b64 s[36:37], s[30:31], 5
	s_mul_i32 s14, s2, s26
	s_add_nc_u64 s[42:43], s[36:37], 32
	s_sub_co_i32 s0, s0, s14
	s_mul_u64 s[18:19], s[18:19], s[2:3]
	s_mul_u64 s[44:45], s[10:11], s[2:3]
	;; [unrolled: 1-line block ×3, first 2 shown]
	s_lshl_b32 s10, s0, 4
	s_mul_u64 s[46:47], s[38:39], s[0:1]
	s_lshl_b64 s[38:39], s[2:3], 4
	s_sub_co_i32 s2, s6, s10
	s_lshl_b64 s[36:37], s[18:19], 4
	s_min_u32 s26, s2, 16
	s_cmp_lg_u32 s6, s10
	v_cvt_f32_ubyte0_e32 v7, s26
	s_add_nc_u64 s[0:1], s[40:41], s[38:39]
	s_mul_u64 s[2:3], s[26:27], s[28:29]
	s_cselect_b32 s40, -1, 0
	s_lshl_b32 s52, s26, 1
	v_rcp_iflag_f32_e32 v4, v7
	v_mov_b32_e32 v2, s26
	s_add_nc_u64 s[48:49], s[2:3], s[26:27]
	v_cmp_gt_u32_e64 s2, s52, v0
	s_cmp_lg_u32 s4, 0x7a
	v_cmp_gt_u32_e32 vcc_lo, s26, v0
	s_cselect_b32 s41, -1, 0
	v_mul_f32_e32 v4, v6, v4
	s_cmp_lg_u32 s5, 0x84
	v_cndmask_b32_e64 v3, 0, 0x3000, s2
	s_cselect_b32 s42, -1, 0
	s_add_co_i32 s6, s26, -1
	v_trunc_f32_e32 v12, v4
	v_cndmask_b32_e64 v10, s52, v2, s2
	s_lshl_b64 s[4:5], s[44:45], 4
	s_lshl_b64 s[44:45], s[46:47], 4
	s_lshl_b32 s14, s26, 4
	v_fma_f32 v6, -v12, v7, v6
	s_mul_i32 s46, s26, s6
	s_add_nc_u64 s[44:45], s[4:5], s[44:45]
	s_lshl_b64 s[4:5], s[6:7], 4
	v_cvt_u32_f32_e32 v12, v12
	v_lshl_add_u32 v21, s46, 4, v8
	s_add_nc_u64 s[46:47], s[14:15], s[4:5]
	v_cmp_ge_f32_e64 s4, |v6|, v7
	v_cndmask_b32_e64 v13, v3, 0x2000, vcc_lo
	v_cndmask_b32_e64 v3, s49, 0, vcc_lo
	;; [unrolled: 1-line block ×4, first 2 shown]
	v_add_co_ci_u32_e64 v15, null, 0, v12, s4
	s_lshl_b64 s[22:23], s[22:23], 4
	v_lshlrev_b64_e32 v[2:3], 4, v[2:3]
	s_mul_u64 s[6:7], s[28:29], s[6:7]
	s_add_nc_u64 s[44:45], s[44:45], s[22:23]
	s_lshl_b64 s[4:5], s[6:7], 4
	v_mul_lo_u16 v6, v15, s26
	v_sub_nc_u32_e32 v10, v0, v24
	s_add_nc_u64 s[4:5], s[44:45], s[4:5]
	s_add_nc_u64 s[10:11], s[0:1], s[36:37]
	s_mul_i32 s0, s26, 3
	s_mul_i32 s1, s26, s26
	s_add_co_i32 s43, s26, 1
	v_add_nc_u64_e32 v[16:17], s[4:5], v[2:3]
	v_cmp_gt_u32_e64 s0, s0, v0
	v_cmp_gt_u32_e64 s1, s1, v0
	v_cmp_le_u32_e64 s3, s52, v0
	v_sub_nc_u16 v12, v0, v6
	v_lshlrev_b32_e32 v0, 4, v24
	v_mul_i32_i24_e32 v18, s43, v10
	v_add_nc_u64_e32 v[2:3], s[44:45], v[2:3]
	s_mul_u64 s[6:7], s[46:47], s[28:29]
	v_and_b32_e32 v14, 0xffff, v15
	s_add_nc_u64 s[6:7], s[44:45], s[6:7]
	v_lshl_add_u32 v34, v18, 4, v13
	v_add_nc_u64_e32 v[6:7], s[6:7], v[8:9]
	v_add_nc_u64_e32 v[18:19], v[16:17], v[8:9]
	;; [unrolled: 1-line block ×3, first 2 shown]
	v_and_b32_e32 v12, 0xffff, v12
	v_add_nc_u32_e32 v20, s26, v10
	v_cmp_gt_u16_e64 s6, 16, v15
	v_dual_lshlrev_b32 v35, 8, v14 :: v_dual_mov_b32 v15, v9
	v_sub_nc_u64_e32 v[6:7], v[6:7], v[0:1]
	v_sub_nc_u64_e32 v[22:23], v[18:19], v[0:1]
	;; [unrolled: 1-line block ×3, first 2 shown]
	v_sub_nc_u32_e32 v21, v21, v0
	s_mul_u64 s[18:19], s[26:27], s[30:31]
	v_lshlrev_b32_e32 v33, 4, v12
	v_mul_u64_e32 v[16:17], s[30:31], v[14:15]
	v_add_nc_u64_e32 v[18:19], s[20:21], v[6:7]
	v_add_nc_u64_e32 v[6:7], s[20:21], v[22:23]
	v_dual_add_nc_u32 v50, s26, v12 :: v_dual_bitop2_b32 v2, 8, v2 bitop3:0x54
	v_dual_add_nc_u32 v15, v13, v21 :: v_dual_ashrrev_i32 v21, 31, v20
	s_add_nc_u64 s[50:51], s[18:19], s[26:27]
	v_add_lshl_u32 v24, v24, s26, 4
	v_cndmask_b32_e64 v5, s51, 0, vcc_lo
	v_cndmask_b32_e64 v4, s50, 0, vcc_lo
	s_add_nc_u64 s[44:45], s[20:21], s[44:45]
	v_add_nc_u64_e32 v[22:23], 8, v[6:7]
	v_sub_nc_u32_e32 v7, s14, v33
	v_lshl_add_u64 v[20:21], v[20:21], 4, s[44:45]
	s_add_nc_u64 s[44:45], s[26:27], -1
	v_dual_sub_nc_u32 v24, v24, v8 :: v_dual_add_nc_u32 v6, s14, v8
	s_mul_u64 s[44:45], s[44:45], s[30:31]
	v_lshlrev_b64_e32 v[4:5], 4, v[4:5]
	s_lshl_b64 s[44:45], s[44:45], 4
	s_add_nc_u64 s[36:37], s[36:37], s[38:39]
	v_add3_u32 v37, v24, v13, -16
	s_add_nc_u64 s[38:39], s[36:37], s[44:45]
	v_add_nc_u64_e32 v[24:25], s[20:21], v[2:3]
	s_add_nc_u64 s[20:21], s[34:35], s[38:39]
	v_dual_sub_nc_u32 v6, v6, v0 :: v_dual_bitop2_b32 v39, 16, v13 bitop3:0x54
	v_add_nc_u64_e32 v[2:3], s[20:21], v[4:5]
	s_add_nc_u64 s[20:21], s[34:35], s[36:37]
	v_mul_u32_u24_e32 v26, s26, v14
	s_delay_alu instid0(VALU_DEP_3)
	v_add_nc_u32_e32 v38, v13, v6
	v_mul_lo_u32 v6, s26, v7
	v_add_nc_u64_e32 v[4:5], s[20:21], v[4:5]
	s_movk_i32 s7, 0x110
	v_add_nc_u64_e32 v[2:3], v[2:3], v[8:9]
	v_dual_lshlrev_b32 v7, 4, v26 :: v_dual_add_nc_u32 v44, -1, v12
	v_lshl_add_u32 v32, v10, 4, v13
	v_cmp_gt_i32_e64 s4, s26, v10
	v_cmp_lt_i32_e64 s5, -1, v10
	v_add_nc_u32_e32 v36, 0x1000, v33
	v_sub_nc_u64_e32 v[0:1], v[2:3], v[0:1]
	v_lshl_add_u64 v[2:3], v[10:11], 4, v[4:5]
	v_sub_nc_u32_e32 v6, v6, v33
	v_sub_nc_u32_e32 v40, 0x3ff0, v35
	v_dual_add_nc_u32 v41, -1, v14 :: v_dual_add_nc_u32 v43, v35, v33
	s_delay_alu instid0(VALU_DEP_4)
	v_add_nc_u64_e32 v[28:29], s[12:13], v[2:3]
	v_add_nc_u64_e32 v[26:27], s[12:13], v[0:1]
	v_mad_u32_u24 v42, v14, s7, 0x2000
	v_add3_u32 v45, v7, v33, 0x1000
	v_add_nc_u32_e32 v46, 0x1ff0, v6
	v_add_nc_u32_e32 v11, 0x1000, v7
	;; [unrolled: 1-line block ×3, first 2 shown]
	v_dual_add_nc_u32 v48, 1, v10 :: v_dual_lshlrev_b32 v30, 4, v12
	v_lshlrev_b32_e32 v8, 4, v50
	s_lshl_b64 s[22:23], s[28:29], 4
	s_lshl_b64 s[12:13], s[30:31], 4
	s_sub_co_i32 s15, 0, s14
	s_lshl_b64 s[8:9], s[8:9], 4
	s_sub_nc_u64 s[28:29], 0, s[22:23]
	s_add_co_i32 s27, s14, 16
	s_lshl_b64 s[20:21], s[16:17], 4
	s_sub_nc_u64 s[30:31], 0, s[12:13]
	s_branch .LBB14_4
.LBB14_2:                               ;   in Loop: Header=BB14_4 Depth=1
	s_or_b32 exec_lo, exec_lo, s7
.LBB14_3:                               ;   in Loop: Header=BB14_4 Depth=1
	s_add_co_i32 s24, s24, 0x10000
	s_delay_alu instid0(SALU_CYCLE_1)
	s_cmp_lt_u32 s24, s33
	s_cbranch_scc0 .LBB14_90
.LBB14_4:                               ; =>This Loop Header: Depth=1
                                        ;     Child Loop BB14_9 Depth 2
                                        ;     Child Loop BB14_13 Depth 2
	;; [unrolled: 1-line block ×5, first 2 shown]
                                        ;       Child Loop BB14_46 Depth 3
                                        ;     Child Loop BB14_53 Depth 2
                                        ;     Child Loop BB14_60 Depth 2
	;; [unrolled: 1-line block ×6, first 2 shown]
	s_and_not1_b32 vcc_lo, exec_lo, s40
	s_cbranch_vccnz .LBB14_3
; %bb.5:                                ;   in Loop: Header=BB14_4 Depth=1
	s_mul_u64 s[34:35], s[8:9], s[24:25]
	s_and_saveexec_b32 s7, s3
	s_delay_alu instid0(SALU_CYCLE_1)
	s_xor_b32 s7, exec_lo, s7
	s_cbranch_execz .LBB14_15
; %bb.6:                                ;   in Loop: Header=BB14_4 Depth=1
	s_and_saveexec_b32 s36, s0
	s_cbranch_execz .LBB14_14
; %bb.7:                                ;   in Loop: Header=BB14_4 Depth=1
	s_and_not1_b32 vcc_lo, exec_lo, s41
	s_mov_b32 s37, -1
	s_cbranch_vccnz .LBB14_11
; %bb.8:                                ;   in Loop: Header=BB14_4 Depth=1
	v_add_nc_u64_e32 v[0:1], s[34:35], v[18:19]
	v_mov_b32_e32 v2, v15
	s_mov_b32 s37, s43
.LBB14_9:                               ;   Parent Loop BB14_4 Depth=1
                                        ; =>  This Inner Loop Header: Depth=2
	global_load_b128 v[4:7], v[0:1], off
	s_wait_xcnt 0x0
	v_add_nc_u64_e32 v[0:1], s[28:29], v[0:1]
	s_add_co_i32 s37, s37, -1
	s_delay_alu instid0(SALU_CYCLE_1)
	s_cmp_gt_u32 s37, 1
	s_wait_loadcnt 0x0
	ds_store_2addr_b64 v2, v[4:5], v[6:7] offset1:1
	v_add_nc_u32_e32 v2, s15, v2
	s_cbranch_scc1 .LBB14_9
; %bb.10:                               ;   in Loop: Header=BB14_4 Depth=1
	s_mov_b32 s37, 0
.LBB14_11:                              ;   in Loop: Header=BB14_4 Depth=1
	s_delay_alu instid0(SALU_CYCLE_1)
	s_and_b32 vcc_lo, exec_lo, s37
	s_cbranch_vccz .LBB14_14
; %bb.12:                               ;   in Loop: Header=BB14_4 Depth=1
	v_add_nc_u64_e32 v[0:1], s[34:35], v[20:21]
	v_mov_b32_e32 v2, v32
	s_mov_b32 s37, s26
.LBB14_13:                              ;   Parent Loop BB14_4 Depth=1
                                        ; =>  This Inner Loop Header: Depth=2
	global_load_b128 v[4:7], v[0:1], off
	s_wait_xcnt 0x0
	v_add_nc_u64_e32 v[0:1], s[22:23], v[0:1]
	s_add_co_i32 s37, s37, -1
	s_delay_alu instid0(SALU_CYCLE_1)
	s_cmp_eq_u32 s37, 0
	s_wait_loadcnt 0x0
	ds_store_2addr_b64 v2, v[4:5], v[6:7] offset1:1
	v_add_nc_u32_e32 v2, s14, v2
	s_cbranch_scc0 .LBB14_13
.LBB14_14:                              ;   in Loop: Header=BB14_4 Depth=1
	s_or_b32 exec_lo, exec_lo, s36
.LBB14_15:                              ;   in Loop: Header=BB14_4 Depth=1
	s_and_not1_saveexec_b32 s7, s7
	s_cbranch_execz .LBB14_27
; %bb.16:                               ;   in Loop: Header=BB14_4 Depth=1
	s_and_b32 vcc_lo, exec_lo, s41
	s_mov_b32 s36, -1
	s_cbranch_vccz .LBB14_22
; %bb.17:                               ;   in Loop: Header=BB14_4 Depth=1
	v_add_nc_u64_e32 v[4:5], s[34:35], v[22:23]
	v_mov_b32_e32 v6, v37
	s_mov_b32 s36, s26
	s_branch .LBB14_19
.LBB14_18:                              ;   in Loop: Header=BB14_19 Depth=2
	s_wait_xcnt 0x0
	s_or_b32 exec_lo, exec_lo, s37
	v_add_nc_u64_e32 v[4:5], s[28:29], v[4:5]
	s_wait_loadcnt 0x0
	ds_store_b128 v6, v[0:3]
	v_add_nc_u32_e32 v6, s14, v6
	s_cmp_lt_i32 s36, 1
	s_cbranch_scc1 .LBB14_21
.LBB14_19:                              ;   Parent Loop BB14_4 Depth=1
                                        ; =>  This Inner Loop Header: Depth=2
	v_mov_b64_e32 v[0:1], 0
	v_mov_b64_e32 v[2:3], 0
	s_add_co_i32 s36, s36, -1
	s_mov_b32 s37, exec_lo
	v_cmpx_ge_i32_e64 s36, v10
	s_cbranch_execz .LBB14_18
; %bb.20:                               ;   in Loop: Header=BB14_19 Depth=2
	global_load_b128 v[0:3], v[4:5], off offset:-8
	s_branch .LBB14_18
.LBB14_21:                              ;   in Loop: Header=BB14_4 Depth=1
	s_mov_b32 s36, 0
.LBB14_22:                              ;   in Loop: Header=BB14_4 Depth=1
	s_delay_alu instid0(SALU_CYCLE_1)
	s_and_b32 vcc_lo, exec_lo, s36
	s_cbranch_vccz .LBB14_27
; %bb.23:                               ;   in Loop: Header=BB14_4 Depth=1
	v_add_nc_u64_e32 v[4:5], s[34:35], v[24:25]
	v_mov_b32_e32 v6, v32
	s_mov_b32 s34, 0
	s_branch .LBB14_25
.LBB14_24:                              ;   in Loop: Header=BB14_25 Depth=2
	s_wait_xcnt 0x0
	s_or_b32 exec_lo, exec_lo, s35
	v_add_nc_u64_e32 v[4:5], s[22:23], v[4:5]
	s_wait_loadcnt 0x0
	ds_store_b128 v6, v[0:3]
	v_add_nc_u32_e32 v6, s14, v6
	s_add_co_i32 s34, s34, 1
	s_delay_alu instid0(SALU_CYCLE_1)
	s_cmp_eq_u32 s26, s34
	s_cbranch_scc1 .LBB14_27
.LBB14_25:                              ;   Parent Loop BB14_4 Depth=1
                                        ; =>  This Inner Loop Header: Depth=2
	v_mov_b64_e32 v[0:1], 0
	v_mov_b64_e32 v[2:3], 0
	s_mov_b32 s35, exec_lo
	v_cmpx_le_i32_e64 s34, v10
	s_cbranch_execz .LBB14_24
; %bb.26:                               ;   in Loop: Header=BB14_25 Depth=2
	global_load_b128 v[0:3], v[4:5], off offset:-8
	s_branch .LBB14_24
.LBB14_27:                              ;   in Loop: Header=BB14_4 Depth=1
	s_or_b32 exec_lo, exec_lo, s7
	s_wait_dscnt 0x0
	s_barrier_signal -1
	s_barrier_wait -1
	s_and_saveexec_b32 s34, s2
	s_cbranch_execz .LBB14_38
; %bb.28:                               ;   in Loop: Header=BB14_4 Depth=1
	s_and_not1_b32 vcc_lo, exec_lo, s42
	s_cbranch_vccnz .LBB14_36
; %bb.29:                               ;   in Loop: Header=BB14_4 Depth=1
	ds_load_b128 v[0:3], v34
	v_mov_b64_e32 v[6:7], 0
	v_mov_b64_e32 v[4:5], 1.0
	s_wait_dscnt 0x0
	v_cmp_neq_f64_e32 vcc_lo, 0, v[0:1]
	v_cmp_neq_f64_e64 s7, 0, v[2:3]
	s_or_b32 s35, vcc_lo, s7
	s_delay_alu instid0(SALU_CYCLE_1)
	s_and_saveexec_b32 s7, s35
	s_cbranch_execz .LBB14_35
; %bb.30:                               ;   in Loop: Header=BB14_4 Depth=1
	v_cmp_ngt_f64_e64 s35, |v[0:1]|, |v[2:3]|
                                        ; implicit-def: $vgpr6_vgpr7
	s_and_saveexec_b32 s36, s35
	s_delay_alu instid0(SALU_CYCLE_1)
	s_xor_b32 s35, exec_lo, s36
	s_cbranch_execz .LBB14_32
; %bb.31:                               ;   in Loop: Header=BB14_4 Depth=1
	v_div_scale_f64 v[4:5], null, v[2:3], v[2:3], v[0:1]
	v_div_scale_f64 v[52:53], vcc_lo, v[0:1], v[2:3], v[0:1]
	s_delay_alu instid0(VALU_DEP_2) | instskip(SKIP_1) | instid1(TRANS32_DEP_1)
	v_rcp_f64_e32 v[6:7], v[4:5]
	v_nop
	v_fma_f64 v[50:51], -v[4:5], v[6:7], 1.0
	s_delay_alu instid0(VALU_DEP_1) | instskip(NEXT) | instid1(VALU_DEP_1)
	v_fmac_f64_e32 v[6:7], v[6:7], v[50:51]
	v_fma_f64 v[50:51], -v[4:5], v[6:7], 1.0
	s_delay_alu instid0(VALU_DEP_1) | instskip(NEXT) | instid1(VALU_DEP_1)
	v_fmac_f64_e32 v[6:7], v[6:7], v[50:51]
	v_mul_f64_e32 v[50:51], v[52:53], v[6:7]
	s_delay_alu instid0(VALU_DEP_1) | instskip(NEXT) | instid1(VALU_DEP_1)
	v_fma_f64 v[4:5], -v[4:5], v[50:51], v[52:53]
	v_div_fmas_f64 v[4:5], v[4:5], v[6:7], v[50:51]
	s_delay_alu instid0(VALU_DEP_1) | instskip(NEXT) | instid1(VALU_DEP_1)
	v_div_fixup_f64 v[4:5], v[4:5], v[2:3], v[0:1]
	v_fmac_f64_e32 v[2:3], v[0:1], v[4:5]
	s_delay_alu instid0(VALU_DEP_1) | instskip(NEXT) | instid1(VALU_DEP_1)
	v_div_scale_f64 v[0:1], null, v[2:3], v[2:3], 1.0
	v_rcp_f64_e32 v[6:7], v[0:1]
	v_nop
	s_delay_alu instid0(TRANS32_DEP_1) | instskip(NEXT) | instid1(VALU_DEP_1)
	v_fma_f64 v[50:51], -v[0:1], v[6:7], 1.0
	v_fmac_f64_e32 v[6:7], v[6:7], v[50:51]
	s_delay_alu instid0(VALU_DEP_1) | instskip(NEXT) | instid1(VALU_DEP_1)
	v_fma_f64 v[50:51], -v[0:1], v[6:7], 1.0
	v_fmac_f64_e32 v[6:7], v[6:7], v[50:51]
	v_div_scale_f64 v[50:51], vcc_lo, 1.0, v[2:3], 1.0
	s_delay_alu instid0(VALU_DEP_1) | instskip(NEXT) | instid1(VALU_DEP_1)
	v_mul_f64_e32 v[52:53], v[50:51], v[6:7]
	v_fma_f64 v[0:1], -v[0:1], v[52:53], v[50:51]
	s_delay_alu instid0(VALU_DEP_1) | instskip(NEXT) | instid1(VALU_DEP_1)
	v_div_fmas_f64 v[0:1], v[0:1], v[6:7], v[52:53]
	v_div_fixup_f64 v[6:7], v[0:1], v[2:3], 1.0
                                        ; implicit-def: $vgpr0_vgpr1
	s_delay_alu instid0(VALU_DEP_1)
	v_mul_f64_e32 v[4:5], v[4:5], v[6:7]
	v_xor_b32_e32 v7, 0x80000000, v7
.LBB14_32:                              ;   in Loop: Header=BB14_4 Depth=1
	s_and_not1_saveexec_b32 s35, s35
	s_cbranch_execz .LBB14_34
; %bb.33:                               ;   in Loop: Header=BB14_4 Depth=1
	v_div_scale_f64 v[4:5], null, v[0:1], v[0:1], v[2:3]
	v_div_scale_f64 v[52:53], vcc_lo, v[2:3], v[0:1], v[2:3]
	s_delay_alu instid0(VALU_DEP_2) | instskip(SKIP_1) | instid1(TRANS32_DEP_1)
	v_rcp_f64_e32 v[6:7], v[4:5]
	v_nop
	v_fma_f64 v[50:51], -v[4:5], v[6:7], 1.0
	s_delay_alu instid0(VALU_DEP_1) | instskip(NEXT) | instid1(VALU_DEP_1)
	v_fmac_f64_e32 v[6:7], v[6:7], v[50:51]
	v_fma_f64 v[50:51], -v[4:5], v[6:7], 1.0
	s_delay_alu instid0(VALU_DEP_1) | instskip(NEXT) | instid1(VALU_DEP_1)
	v_fmac_f64_e32 v[6:7], v[6:7], v[50:51]
	v_mul_f64_e32 v[50:51], v[52:53], v[6:7]
	s_delay_alu instid0(VALU_DEP_1) | instskip(NEXT) | instid1(VALU_DEP_1)
	v_fma_f64 v[4:5], -v[4:5], v[50:51], v[52:53]
	v_div_fmas_f64 v[4:5], v[4:5], v[6:7], v[50:51]
	s_delay_alu instid0(VALU_DEP_1) | instskip(NEXT) | instid1(VALU_DEP_1)
	v_div_fixup_f64 v[6:7], v[4:5], v[0:1], v[2:3]
	v_fmac_f64_e32 v[0:1], v[2:3], v[6:7]
	s_delay_alu instid0(VALU_DEP_1) | instskip(NEXT) | instid1(VALU_DEP_1)
	v_div_scale_f64 v[2:3], null, v[0:1], v[0:1], 1.0
	v_rcp_f64_e32 v[4:5], v[2:3]
	v_nop
	s_delay_alu instid0(TRANS32_DEP_1) | instskip(NEXT) | instid1(VALU_DEP_1)
	v_fma_f64 v[50:51], -v[2:3], v[4:5], 1.0
	v_fmac_f64_e32 v[4:5], v[4:5], v[50:51]
	s_delay_alu instid0(VALU_DEP_1) | instskip(NEXT) | instid1(VALU_DEP_1)
	v_fma_f64 v[50:51], -v[2:3], v[4:5], 1.0
	v_fmac_f64_e32 v[4:5], v[4:5], v[50:51]
	v_div_scale_f64 v[50:51], vcc_lo, 1.0, v[0:1], 1.0
	s_delay_alu instid0(VALU_DEP_1) | instskip(NEXT) | instid1(VALU_DEP_1)
	v_mul_f64_e32 v[52:53], v[50:51], v[4:5]
	v_fma_f64 v[2:3], -v[2:3], v[52:53], v[50:51]
	s_delay_alu instid0(VALU_DEP_1) | instskip(NEXT) | instid1(VALU_DEP_1)
	v_div_fmas_f64 v[2:3], v[2:3], v[4:5], v[52:53]
	v_div_fixup_f64 v[4:5], v[2:3], v[0:1], 1.0
	s_delay_alu instid0(VALU_DEP_1)
	v_mul_f64_e64 v[6:7], v[6:7], -v[4:5]
.LBB14_34:                              ;   in Loop: Header=BB14_4 Depth=1
	s_or_b32 exec_lo, exec_lo, s35
.LBB14_35:                              ;   in Loop: Header=BB14_4 Depth=1
	s_delay_alu instid0(SALU_CYCLE_1)
	s_or_b32 exec_lo, exec_lo, s7
	s_branch .LBB14_37
.LBB14_36:                              ;   in Loop: Header=BB14_4 Depth=1
	v_mov_b64_e32 v[6:7], 0
	v_mov_b64_e32 v[4:5], 1.0
.LBB14_37:                              ;   in Loop: Header=BB14_4 Depth=1
	ds_store_b128 v34, v[4:7]
.LBB14_38:                              ;   in Loop: Header=BB14_4 Depth=1
	s_or_b32 exec_lo, exec_lo, s34
	s_wait_dscnt 0x0
	s_barrier_signal -1
	s_barrier_wait -1
	s_and_saveexec_b32 s7, s2
	s_cbranch_execz .LBB14_50
; %bb.39:                               ;   in Loop: Header=BB14_4 Depth=1
	v_dual_mov_b32 v4, v39 :: v_dual_mov_b32 v5, v38
	s_mov_b32 s34, 0
	s_branch .LBB14_41
.LBB14_40:                              ;   in Loop: Header=BB14_41 Depth=2
	v_dual_add_nc_u32 v5, s14, v5 :: v_dual_add_nc_u32 v4, s27, v4
	s_cmp_eq_u32 s34, s26
	s_cbranch_scc1 .LBB14_50
.LBB14_41:                              ;   Parent Loop BB14_4 Depth=1
                                        ; =>  This Loop Header: Depth=2
                                        ;       Child Loop BB14_46 Depth 3
	v_mov_b64_e32 v[0:1], 0
	v_mov_b64_e32 v[2:3], 0
	s_mul_i32 s35, s34, s26
	s_mov_b32 s36, exec_lo
	v_cmpx_lt_i32_e64 s34, v10
	s_cbranch_execz .LBB14_43
; %bb.42:                               ;   in Loop: Header=BB14_41 Depth=2
	s_lshl_b32 s37, s35, 4
	s_lshl_b32 s38, s34, 4
	v_add_nc_u32_e32 v6, s37, v32
	v_add3_u32 v0, s37, s38, v13
	ds_load_b128 v[0:3], v0
	ds_load_b128 v[50:53], v6
	s_wait_dscnt 0x0
	v_mul_f64_e32 v[6:7], v[2:3], v[52:53]
	v_mul_f64_e32 v[52:53], v[0:1], v[52:53]
	s_delay_alu instid0(VALU_DEP_2) | instskip(NEXT) | instid1(VALU_DEP_2)
	v_fma_f64 v[0:1], v[0:1], v[50:51], -v[6:7]
	v_fmac_f64_e32 v[52:53], v[2:3], v[50:51]
	s_delay_alu instid0(VALU_DEP_2) | instskip(NEXT) | instid1(VALU_DEP_2)
	v_add_f64_e32 v[0:1], 0, v[0:1]
	v_add_f64_e32 v[2:3], 0, v[52:53]
.LBB14_43:                              ;   in Loop: Header=BB14_41 Depth=2
	s_or_b32 exec_lo, exec_lo, s36
	s_add_co_i32 s34, s34, 1
	s_delay_alu instid0(SALU_CYCLE_1)
	s_cmp_ge_u32 s34, s26
	s_cbranch_scc1 .LBB14_40
; %bb.44:                               ;   in Loop: Header=BB14_41 Depth=2
	v_lshl_add_u32 v6, s35, 4, v32
	v_dual_mov_b32 v7, v4 :: v_dual_mov_b32 v31, v5
	s_mov_b32 s35, s34
	s_branch .LBB14_46
.LBB14_45:                              ;   in Loop: Header=BB14_46 Depth=3
	s_or_b32 exec_lo, exec_lo, s36
	v_add_nc_u32_e32 v31, s14, v31
	v_add_nc_u32_e32 v7, 16, v7
	s_add_co_i32 s35, s35, 1
	s_delay_alu instid0(SALU_CYCLE_1)
	s_cmp_eq_u32 s26, s35
	s_cbranch_scc1 .LBB14_40
.LBB14_46:                              ;   Parent Loop BB14_4 Depth=1
                                        ;     Parent Loop BB14_41 Depth=2
                                        ; =>    This Inner Loop Header: Depth=3
	s_mov_b32 s36, exec_lo
	v_cmpx_eq_u32_e64 s35, v10
	s_cbranch_execz .LBB14_48
; %bb.47:                               ;   in Loop: Header=BB14_46 Depth=3
	ds_load_b128 v[50:53], v34
	v_add_f64_e64 v[56:57], -v[0:1], 0
	s_wait_dscnt 0x0
	v_mul_f64_e32 v[54:55], v[2:3], v[52:53]
	v_mul_f64_e32 v[58:59], v[2:3], v[50:51]
	s_delay_alu instid0(VALU_DEP_2) | instskip(NEXT) | instid1(VALU_DEP_2)
	v_fmac_f64_e32 v[54:55], v[56:57], v[50:51]
	v_fma_f64 v[56:57], v[56:57], v[52:53], -v[58:59]
	ds_store_b128 v6, v[54:57]
.LBB14_48:                              ;   in Loop: Header=BB14_46 Depth=3
	s_or_b32 exec_lo, exec_lo, s36
	s_delay_alu instid0(SALU_CYCLE_1)
	s_mov_b32 s36, exec_lo
	v_cmpx_lt_i32_e64 s35, v10
	s_cbranch_execz .LBB14_45
; %bb.49:                               ;   in Loop: Header=BB14_46 Depth=3
	ds_load_b128 v[50:53], v7
	ds_load_b128 v[54:57], v31
	s_wait_dscnt 0x0
	v_mul_f64_e32 v[58:59], v[52:53], v[56:57]
	v_mul_f64_e32 v[56:57], v[50:51], v[56:57]
	s_delay_alu instid0(VALU_DEP_2) | instskip(NEXT) | instid1(VALU_DEP_2)
	v_fma_f64 v[50:51], v[50:51], v[54:55], -v[58:59]
	v_fmac_f64_e32 v[56:57], v[52:53], v[54:55]
	s_delay_alu instid0(VALU_DEP_2) | instskip(NEXT) | instid1(VALU_DEP_2)
	v_add_f64_e32 v[0:1], v[0:1], v[50:51]
	v_add_f64_e32 v[2:3], v[2:3], v[56:57]
	s_branch .LBB14_45
.LBB14_50:                              ;   in Loop: Header=BB14_4 Depth=1
	s_or_b32 exec_lo, exec_lo, s7
	s_delay_alu instid0(SALU_CYCLE_1)
	s_and_b32 vcc_lo, exec_lo, s41
	s_wait_dscnt 0x0
	s_barrier_signal -1
	s_barrier_wait -1
	s_cbranch_vccz .LBB14_56
; %bb.51:                               ;   in Loop: Header=BB14_4 Depth=1
	s_mov_b32 s34, 0
	s_mov_b32 s7, 0
                                        ; implicit-def: $vgpr0_vgpr1
	s_and_saveexec_b32 s35, s1
	s_cbranch_execz .LBB14_55
; %bb.52:                               ;   in Loop: Header=BB14_4 Depth=1
	v_mov_b64_e32 v[0:1], 0
	v_mov_b64_e32 v[2:3], 0
	v_dual_mov_b32 v4, v33 :: v_dual_mov_b32 v5, v40
	s_mov_b32 s36, -1
.LBB14_53:                              ;   Parent Loop BB14_4 Depth=1
                                        ; =>  This Inner Loop Header: Depth=2
	ds_load_b128 v[50:53], v5
	ds_load_b128 v[54:57], v4
	s_add_co_i32 s36, s36, 1
	v_add_nc_u32_e32 v4, 0x100, v4
	v_cmp_ge_u32_e32 vcc_lo, s36, v14
	v_add_nc_u32_e32 v5, -16, v5
	s_or_b32 s7, vcc_lo, s7
	s_wait_dscnt 0x0
	v_mul_f64_e32 v[6:7], v[52:53], v[56:57]
	v_mul_f64_e32 v[56:57], v[50:51], v[56:57]
	s_delay_alu instid0(VALU_DEP_2) | instskip(NEXT) | instid1(VALU_DEP_2)
	v_fma_f64 v[6:7], v[50:51], v[54:55], -v[6:7]
	v_fmac_f64_e32 v[56:57], v[52:53], v[54:55]
	s_delay_alu instid0(VALU_DEP_2) | instskip(NEXT) | instid1(VALU_DEP_2)
	v_add_f64_e32 v[2:3], v[2:3], v[6:7]
	v_add_f64_e32 v[0:1], v[0:1], v[56:57]
	s_and_not1_b32 exec_lo, exec_lo, s7
	s_cbranch_execnz .LBB14_53
; %bb.54:                               ;   in Loop: Header=BB14_4 Depth=1
	s_or_b32 exec_lo, exec_lo, s7
	v_add_nc_u32_e32 v4, v36, v35
	s_mov_b32 s7, exec_lo
	ds_store_b64 v4, v[2:3]
.LBB14_55:                              ;   in Loop: Header=BB14_4 Depth=1
	s_or_b32 exec_lo, exec_lo, s35
	s_delay_alu instid0(SALU_CYCLE_1)
	s_and_b32 vcc_lo, exec_lo, s34
	s_cbranch_vccnz .LBB14_57
	s_branch .LBB14_64
.LBB14_56:                              ;   in Loop: Header=BB14_4 Depth=1
	s_mov_b32 s7, 0
                                        ; implicit-def: $vgpr0_vgpr1
	s_cbranch_execz .LBB14_64
.LBB14_57:                              ;   in Loop: Header=BB14_4 Depth=1
                                        ; implicit-def: $vgpr0_vgpr1
	s_and_saveexec_b32 s34, s1
	s_cbranch_execz .LBB14_63
; %bb.58:                               ;   in Loop: Header=BB14_4 Depth=1
	v_mov_b64_e32 v[0:1], 0
	v_mov_b64_e32 v[2:3], 0
	s_and_saveexec_b32 s35, s6
	s_cbranch_execz .LBB14_62
; %bb.59:                               ;   in Loop: Header=BB14_4 Depth=1
	v_mov_b64_e32 v[0:1], 0
	v_mov_b64_e32 v[2:3], 0
	v_dual_mov_b32 v4, v43 :: v_dual_mov_b32 v5, v42
	v_mov_b32_e32 v6, v41
	s_mov_b32 s36, 0
.LBB14_60:                              ;   Parent Loop BB14_4 Depth=1
                                        ; =>  This Inner Loop Header: Depth=2
	ds_load_b128 v[50:53], v5
	ds_load_b128 v[54:57], v4
	v_add_nc_u32_e32 v4, 0x100, v4
	v_dual_add_nc_u32 v6, 1, v6 :: v_dual_add_nc_u32 v5, 16, v5
	s_delay_alu instid0(VALU_DEP_1) | instskip(SKIP_4) | instid1(VALU_DEP_2)
	v_cmp_lt_u32_e32 vcc_lo, 14, v6
	s_or_b32 s36, vcc_lo, s36
	s_wait_dscnt 0x0
	v_mul_f64_e32 v[58:59], v[52:53], v[56:57]
	v_mul_f64_e32 v[56:57], v[50:51], v[56:57]
	v_fma_f64 v[50:51], v[50:51], v[54:55], -v[58:59]
	s_delay_alu instid0(VALU_DEP_2) | instskip(NEXT) | instid1(VALU_DEP_2)
	v_fmac_f64_e32 v[56:57], v[52:53], v[54:55]
	v_add_f64_e32 v[2:3], v[2:3], v[50:51]
	s_delay_alu instid0(VALU_DEP_2)
	v_add_f64_e32 v[0:1], v[0:1], v[56:57]
	s_and_not1_b32 exec_lo, exec_lo, s36
	s_cbranch_execnz .LBB14_60
; %bb.61:                               ;   in Loop: Header=BB14_4 Depth=1
	s_or_b32 exec_lo, exec_lo, s36
.LBB14_62:                              ;   in Loop: Header=BB14_4 Depth=1
	s_delay_alu instid0(SALU_CYCLE_1)
	s_or_b32 exec_lo, exec_lo, s35
	v_add_nc_u32_e32 v4, v36, v35
	s_or_b32 s7, s7, exec_lo
	ds_store_b64 v4, v[2:3]
.LBB14_63:                              ;   in Loop: Header=BB14_4 Depth=1
	s_or_b32 exec_lo, exec_lo, s34
.LBB14_64:                              ;   in Loop: Header=BB14_4 Depth=1
	s_and_saveexec_b32 s34, s7
; %bb.65:                               ;   in Loop: Header=BB14_4 Depth=1
	v_add_nc_u32_e32 v2, v36, v35
	ds_store_b64 v2, v[0:1] offset:8
; %bb.66:                               ;   in Loop: Header=BB14_4 Depth=1
	s_or_b32 exec_lo, exec_lo, s34
	s_mul_u64 s[34:35], s[16:17], s[24:25]
	s_and_b32 vcc_lo, exec_lo, s41
	s_lshl_b64 s[34:35], s[34:35], 4
	s_wait_dscnt 0x0
	s_add_nc_u64 s[34:35], s[10:11], s[34:35]
	s_barrier_signal -1
	s_barrier_wait -1
	s_cbranch_vccz .LBB14_72
; %bb.67:                               ;   in Loop: Header=BB14_4 Depth=1
	s_mov_b32 s36, 0
	s_mov_b32 s7, 0
                                        ; implicit-def: $vgpr0_vgpr1
                                        ; implicit-def: $vgpr2_vgpr3
	s_and_saveexec_b32 s37, s1
	s_cbranch_execz .LBB14_71
; %bb.68:                               ;   in Loop: Header=BB14_4 Depth=1
	v_mov_b64_e32 v[4:5], 0
	v_mov_b64_e32 v[0:1], 0
	v_dual_mov_b32 v2, v46 :: v_dual_mov_b32 v3, v45
	v_mov_b32_e32 v6, v44
.LBB14_69:                              ;   Parent Loop BB14_4 Depth=1
                                        ; =>  This Inner Loop Header: Depth=2
	ds_load_b128 v[50:53], v2
	ds_load_b128 v[54:57], v3
	v_dual_add_nc_u32 v6, 1, v6 :: v_dual_add_nc_u32 v3, 16, v3
	v_add_nc_u32_e32 v2, s15, v2
	s_delay_alu instid0(VALU_DEP_2) | instskip(SKIP_4) | instid1(VALU_DEP_2)
	v_cmp_lt_u32_e32 vcc_lo, 14, v6
	s_or_b32 s7, vcc_lo, s7
	s_wait_dscnt 0x0
	v_mul_f64_e32 v[58:59], v[50:51], v[54:55]
	v_mul_f64_e32 v[50:51], v[50:51], v[56:57]
	v_fma_f64 v[56:57], v[52:53], v[56:57], -v[58:59]
	s_delay_alu instid0(VALU_DEP_2) | instskip(NEXT) | instid1(VALU_DEP_2)
	v_fma_f64 v[50:51], v[54:55], -v[52:53], -v[50:51]
	v_add_f64_e32 v[4:5], v[4:5], v[56:57]
	s_delay_alu instid0(VALU_DEP_2)
	v_add_f64_e32 v[0:1], v[0:1], v[50:51]
	s_and_not1_b32 exec_lo, exec_lo, s7
	s_cbranch_execnz .LBB14_69
; %bb.70:                               ;   in Loop: Header=BB14_4 Depth=1
	s_or_b32 exec_lo, exec_lo, s7
	v_mov_b32_e32 v31, v9
	s_lshl_b64 s[38:39], s[18:19], 4
	s_mov_b32 s7, exec_lo
	s_add_nc_u64 s[38:39], s[34:35], s[38:39]
	s_delay_alu instid0(VALU_DEP_1) | instid1(SALU_CYCLE_1)
	v_add_nc_u64_e32 v[2:3], s[38:39], v[30:31]
	s_delay_alu instid0(VALU_DEP_1)
	v_lshl_add_u64 v[2:3], v[16:17], 4, v[2:3]
	global_store_b64 v[2:3], v[4:5], off
.LBB14_71:                              ;   in Loop: Header=BB14_4 Depth=1
	s_wait_xcnt 0x0
	s_or_b32 exec_lo, exec_lo, s37
	s_delay_alu instid0(SALU_CYCLE_1)
	s_and_b32 vcc_lo, exec_lo, s36
	s_cbranch_vccnz .LBB14_73
	s_branch .LBB14_78
.LBB14_72:                              ;   in Loop: Header=BB14_4 Depth=1
	s_mov_b32 s7, 0
                                        ; implicit-def: $vgpr0_vgpr1
                                        ; implicit-def: $vgpr2_vgpr3
	s_cbranch_execz .LBB14_78
.LBB14_73:                              ;   in Loop: Header=BB14_4 Depth=1
                                        ; implicit-def: $vgpr0_vgpr1
                                        ; implicit-def: $vgpr2_vgpr3
	s_and_saveexec_b32 s36, s1
	s_cbranch_execz .LBB14_77
; %bb.74:                               ;   in Loop: Header=BB14_4 Depth=1
	v_mov_b64_e32 v[4:5], 0
	v_mov_b64_e32 v[0:1], 0
	v_dual_mov_b32 v2, v47 :: v_dual_mov_b32 v3, v11
	s_mov_b32 s38, -1
	s_mov_b32 s37, 0
.LBB14_75:                              ;   Parent Loop BB14_4 Depth=1
                                        ; =>  This Inner Loop Header: Depth=2
	ds_load_b128 v[50:53], v2
	ds_load_b128 v[54:57], v3
	s_add_co_i32 s38, s38, 1
	v_add_nc_u32_e32 v3, 16, v3
	v_cmp_ge_u32_e32 vcc_lo, s38, v12
	v_add_nc_u32_e32 v2, s14, v2
	s_or_b32 s37, vcc_lo, s37
	s_wait_dscnt 0x0
	v_mul_f64_e32 v[6:7], v[50:51], v[54:55]
	v_mul_f64_e32 v[50:51], v[50:51], v[56:57]
	s_delay_alu instid0(VALU_DEP_2) | instskip(NEXT) | instid1(VALU_DEP_2)
	v_fma_f64 v[6:7], v[52:53], v[56:57], -v[6:7]
	v_fma_f64 v[50:51], v[54:55], -v[52:53], -v[50:51]
	s_delay_alu instid0(VALU_DEP_2) | instskip(NEXT) | instid1(VALU_DEP_2)
	v_add_f64_e32 v[4:5], v[4:5], v[6:7]
	v_add_f64_e32 v[0:1], v[0:1], v[50:51]
	s_and_not1_b32 exec_lo, exec_lo, s37
	s_cbranch_execnz .LBB14_75
; %bb.76:                               ;   in Loop: Header=BB14_4 Depth=1
	s_or_b32 exec_lo, exec_lo, s37
	v_lshl_add_u64 v[2:3], v[16:17], 4, s[34:35]
	s_or_b32 s7, s7, exec_lo
	s_delay_alu instid0(VALU_DEP_1)
	v_add_nc_u64_e32 v[2:3], v[2:3], v[8:9]
	global_store_b64 v[2:3], v[4:5], off
.LBB14_77:                              ;   in Loop: Header=BB14_4 Depth=1
	s_wait_xcnt 0x0
	s_or_b32 exec_lo, exec_lo, s36
.LBB14_78:                              ;   in Loop: Header=BB14_4 Depth=1
	s_and_saveexec_b32 s34, s7
	s_cbranch_execz .LBB14_80
; %bb.79:                               ;   in Loop: Header=BB14_4 Depth=1
	global_store_b64 v[2:3], v[0:1], off offset:8
.LBB14_80:                              ;   in Loop: Header=BB14_4 Depth=1
	s_wait_xcnt 0x0
	s_or_b32 exec_lo, exec_lo, s34
	s_and_saveexec_b32 s7, s2
	s_cbranch_execz .LBB14_2
; %bb.81:                               ;   in Loop: Header=BB14_4 Depth=1
	s_mul_u64 s[34:35], s[20:21], s[24:25]
	s_and_b32 vcc_lo, exec_lo, s41
	s_mov_b32 s36, -1
	s_cbranch_vccz .LBB14_86
; %bb.82:                               ;   in Loop: Header=BB14_4 Depth=1
	s_and_saveexec_b32 s36, s4
	s_cbranch_execz .LBB14_85
; %bb.83:                               ;   in Loop: Header=BB14_4 Depth=1
	v_add_nc_u64_e32 v[0:1], s[34:35], v[26:27]
	v_mov_b32_e32 v2, v37
	s_mov_b32 s37, 0
	s_mov_b32 s38, s26
.LBB14_84:                              ;   Parent Loop BB14_4 Depth=1
                                        ; =>  This Inner Loop Header: Depth=2
	ds_load_2addr_b64 v[4:7], v2 offset1:1
	s_add_co_i32 s38, s38, -1
	v_add_nc_u32_e32 v2, s14, v2
	v_cmp_le_i32_e32 vcc_lo, s38, v10
	s_or_b32 s37, vcc_lo, s37
	s_wait_dscnt 0x0
	global_store_b128 v[0:1], v[4:7], off
	s_wait_xcnt 0x0
	v_add_nc_u64_e32 v[0:1], s[30:31], v[0:1]
	s_and_not1_b32 exec_lo, exec_lo, s37
	s_cbranch_execnz .LBB14_84
.LBB14_85:                              ;   in Loop: Header=BB14_4 Depth=1
	s_or_b32 exec_lo, exec_lo, s36
	s_mov_b32 s36, 0
.LBB14_86:                              ;   in Loop: Header=BB14_4 Depth=1
	s_delay_alu instid0(SALU_CYCLE_1)
	s_and_not1_b32 vcc_lo, exec_lo, s36
	s_cbranch_vccnz .LBB14_2
; %bb.87:                               ;   in Loop: Header=BB14_4 Depth=1
	s_and_b32 exec_lo, exec_lo, s5
	s_cbranch_execz .LBB14_2
; %bb.88:                               ;   in Loop: Header=BB14_4 Depth=1
	v_add_nc_u64_e32 v[0:1], s[34:35], v[28:29]
	v_dual_mov_b32 v2, v32 :: v_dual_mov_b32 v3, v48
	s_mov_b32 s34, 0
.LBB14_89:                              ;   Parent Loop BB14_4 Depth=1
                                        ; =>  This Inner Loop Header: Depth=2
	ds_load_2addr_b64 v[4:7], v2 offset1:1
	v_dual_add_nc_u32 v3, -1, v3 :: v_dual_add_nc_u32 v2, s14, v2
	s_delay_alu instid0(VALU_DEP_1)
	v_cmp_eq_u32_e32 vcc_lo, 0, v3
	s_or_b32 s34, vcc_lo, s34
	s_wait_dscnt 0x0
	global_store_b128 v[0:1], v[4:7], off
	s_wait_xcnt 0x0
	v_add_nc_u64_e32 v[0:1], s[12:13], v[0:1]
	s_and_not1_b32 exec_lo, exec_lo, s34
	s_cbranch_execnz .LBB14_89
	s_branch .LBB14_2
.LBB14_90:
	s_endpgm
	.section	.rodata,"a",@progbits
	.p2align	6, 0x0
	.amdhsa_kernel _ZL29rocblas_trtri_diagonal_kernelILi16E19rocblas_complex_numIdEPKS1_PS1_Ev13rocblas_fill_17rocblas_diagonal_iT1_lillT2_lilli
		.amdhsa_group_segment_fixed_size 16384
		.amdhsa_private_segment_fixed_size 0
		.amdhsa_kernarg_size 100
		.amdhsa_user_sgpr_count 2
		.amdhsa_user_sgpr_dispatch_ptr 0
		.amdhsa_user_sgpr_queue_ptr 0
		.amdhsa_user_sgpr_kernarg_segment_ptr 1
		.amdhsa_user_sgpr_dispatch_id 0
		.amdhsa_user_sgpr_kernarg_preload_length 0
		.amdhsa_user_sgpr_kernarg_preload_offset 0
		.amdhsa_user_sgpr_private_segment_size 0
		.amdhsa_wavefront_size32 1
		.amdhsa_uses_dynamic_stack 0
		.amdhsa_enable_private_segment 0
		.amdhsa_system_sgpr_workgroup_id_x 1
		.amdhsa_system_sgpr_workgroup_id_y 0
		.amdhsa_system_sgpr_workgroup_id_z 1
		.amdhsa_system_sgpr_workgroup_info 0
		.amdhsa_system_vgpr_workitem_id 0
		.amdhsa_next_free_vgpr 60
		.amdhsa_next_free_sgpr 53
		.amdhsa_named_barrier_count 0
		.amdhsa_reserve_vcc 1
		.amdhsa_float_round_mode_32 0
		.amdhsa_float_round_mode_16_64 0
		.amdhsa_float_denorm_mode_32 3
		.amdhsa_float_denorm_mode_16_64 3
		.amdhsa_fp16_overflow 0
		.amdhsa_memory_ordered 1
		.amdhsa_forward_progress 1
		.amdhsa_inst_pref_size 29
		.amdhsa_round_robin_scheduling 0
		.amdhsa_exception_fp_ieee_invalid_op 0
		.amdhsa_exception_fp_denorm_src 0
		.amdhsa_exception_fp_ieee_div_zero 0
		.amdhsa_exception_fp_ieee_overflow 0
		.amdhsa_exception_fp_ieee_underflow 0
		.amdhsa_exception_fp_ieee_inexact 0
		.amdhsa_exception_int_div_zero 0
	.end_amdhsa_kernel
	.section	.text._ZL29rocblas_trtri_diagonal_kernelILi16E19rocblas_complex_numIdEPKS1_PS1_Ev13rocblas_fill_17rocblas_diagonal_iT1_lillT2_lilli,"axG",@progbits,_ZL29rocblas_trtri_diagonal_kernelILi16E19rocblas_complex_numIdEPKS1_PS1_Ev13rocblas_fill_17rocblas_diagonal_iT1_lillT2_lilli,comdat
.Lfunc_end14:
	.size	_ZL29rocblas_trtri_diagonal_kernelILi16E19rocblas_complex_numIdEPKS1_PS1_Ev13rocblas_fill_17rocblas_diagonal_iT1_lillT2_lilli, .Lfunc_end14-_ZL29rocblas_trtri_diagonal_kernelILi16E19rocblas_complex_numIdEPKS1_PS1_Ev13rocblas_fill_17rocblas_diagonal_iT1_lillT2_lilli
                                        ; -- End function
	.set _ZL29rocblas_trtri_diagonal_kernelILi16E19rocblas_complex_numIdEPKS1_PS1_Ev13rocblas_fill_17rocblas_diagonal_iT1_lillT2_lilli.num_vgpr, 60
	.set _ZL29rocblas_trtri_diagonal_kernelILi16E19rocblas_complex_numIdEPKS1_PS1_Ev13rocblas_fill_17rocblas_diagonal_iT1_lillT2_lilli.num_agpr, 0
	.set _ZL29rocblas_trtri_diagonal_kernelILi16E19rocblas_complex_numIdEPKS1_PS1_Ev13rocblas_fill_17rocblas_diagonal_iT1_lillT2_lilli.numbered_sgpr, 53
	.set _ZL29rocblas_trtri_diagonal_kernelILi16E19rocblas_complex_numIdEPKS1_PS1_Ev13rocblas_fill_17rocblas_diagonal_iT1_lillT2_lilli.num_named_barrier, 0
	.set _ZL29rocblas_trtri_diagonal_kernelILi16E19rocblas_complex_numIdEPKS1_PS1_Ev13rocblas_fill_17rocblas_diagonal_iT1_lillT2_lilli.private_seg_size, 0
	.set _ZL29rocblas_trtri_diagonal_kernelILi16E19rocblas_complex_numIdEPKS1_PS1_Ev13rocblas_fill_17rocblas_diagonal_iT1_lillT2_lilli.uses_vcc, 1
	.set _ZL29rocblas_trtri_diagonal_kernelILi16E19rocblas_complex_numIdEPKS1_PS1_Ev13rocblas_fill_17rocblas_diagonal_iT1_lillT2_lilli.uses_flat_scratch, 0
	.set _ZL29rocblas_trtri_diagonal_kernelILi16E19rocblas_complex_numIdEPKS1_PS1_Ev13rocblas_fill_17rocblas_diagonal_iT1_lillT2_lilli.has_dyn_sized_stack, 0
	.set _ZL29rocblas_trtri_diagonal_kernelILi16E19rocblas_complex_numIdEPKS1_PS1_Ev13rocblas_fill_17rocblas_diagonal_iT1_lillT2_lilli.has_recursion, 0
	.set _ZL29rocblas_trtri_diagonal_kernelILi16E19rocblas_complex_numIdEPKS1_PS1_Ev13rocblas_fill_17rocblas_diagonal_iT1_lillT2_lilli.has_indirect_call, 0
	.section	.AMDGPU.csdata,"",@progbits
; Kernel info:
; codeLenInByte = 3640
; TotalNumSgprs: 55
; NumVgprs: 60
; ScratchSize: 0
; MemoryBound: 1
; FloatMode: 240
; IeeeMode: 1
; LDSByteSize: 16384 bytes/workgroup (compile time only)
; SGPRBlocks: 0
; VGPRBlocks: 3
; NumSGPRsForWavesPerEU: 55
; NumVGPRsForWavesPerEU: 60
; NamedBarCnt: 0
; Occupancy: 16
; WaveLimiterHint : 0
; COMPUTE_PGM_RSRC2:SCRATCH_EN: 0
; COMPUTE_PGM_RSRC2:USER_SGPR: 2
; COMPUTE_PGM_RSRC2:TRAP_HANDLER: 0
; COMPUTE_PGM_RSRC2:TGID_X_EN: 1
; COMPUTE_PGM_RSRC2:TGID_Y_EN: 0
; COMPUTE_PGM_RSRC2:TGID_Z_EN: 1
; COMPUTE_PGM_RSRC2:TIDIG_COMP_CNT: 0
	.section	.text._ZL30rocblas_trtri_remainder_kernelILi16E19rocblas_complex_numIdEPKS1_PS1_Ev13rocblas_fill_17rocblas_diagonal_iT1_lillT2_lilli,"axG",@progbits,_ZL30rocblas_trtri_remainder_kernelILi16E19rocblas_complex_numIdEPKS1_PS1_Ev13rocblas_fill_17rocblas_diagonal_iT1_lillT2_lilli,comdat
	.globl	_ZL30rocblas_trtri_remainder_kernelILi16E19rocblas_complex_numIdEPKS1_PS1_Ev13rocblas_fill_17rocblas_diagonal_iT1_lillT2_lilli ; -- Begin function _ZL30rocblas_trtri_remainder_kernelILi16E19rocblas_complex_numIdEPKS1_PS1_Ev13rocblas_fill_17rocblas_diagonal_iT1_lillT2_lilli
	.p2align	8
	.type	_ZL30rocblas_trtri_remainder_kernelILi16E19rocblas_complex_numIdEPKS1_PS1_Ev13rocblas_fill_17rocblas_diagonal_iT1_lillT2_lilli,@function
_ZL30rocblas_trtri_remainder_kernelILi16E19rocblas_complex_numIdEPKS1_PS1_Ev13rocblas_fill_17rocblas_diagonal_iT1_lillT2_lilli: ; @_ZL30rocblas_trtri_remainder_kernelILi16E19rocblas_complex_numIdEPKS1_PS1_Ev13rocblas_fill_17rocblas_diagonal_iT1_lillT2_lilli
; %bb.0:
	s_load_b32 s23, s[0:1], 0x60
	s_bfe_u32 s2, ttmp6, 0x40014
	s_lshr_b32 s3, ttmp7, 16
	s_add_co_i32 s2, s2, 1
	s_bfe_u32 s4, ttmp6, 0x40008
	s_mul_i32 s2, s3, s2
	s_getreg_b32 s26, hwreg(HW_REG_IB_STS2, 6, 4)
	s_add_co_i32 s4, s4, s2
	s_cmp_eq_u32 s26, 0
	s_cselect_b32 s2, s3, s4
	s_mov_b32 s3, 0
	s_wait_kmcnt 0x0
	s_cmp_ge_u32 s2, s23
	s_cbranch_scc1 .LBB15_43
; %bb.1:
	s_clause 0x5
	s_load_b32 s28, s[0:1], 0x20
	s_load_b32 s24, s[0:1], 0x48
	s_load_b96 s[20:22], s[0:1], 0x0
	s_load_b256 s[4:11], s[0:1], 0x28
	s_load_b128 s[16:19], s[0:1], 0x10
	s_load_b128 s[12:15], s[0:1], 0x50
	s_wait_xcnt 0x0
	s_bfe_u32 s1, ttmp6, 0x4000c
	s_and_b32 s0, ttmp6, 15
	s_add_co_i32 s1, s1, 1
	s_mov_b32 s31, s3
	s_mul_i32 s1, ttmp9, s1
	s_mov_b32 s35, s3
	s_add_co_i32 s1, s0, s1
	v_mov_b32_e32 v11, 0
	s_wait_kmcnt 0x0
	s_ashr_i32 s29, s28, 31
	s_ashr_i32 s25, s24, 31
	s_cmp_eq_u32 s26, 0
	v_mul_lo_u32 v2, v0, s22
	s_cselect_b32 s30, ttmp9, s1
	s_cmp_gt_i32 s22, 0
	s_mul_u64 s[6:7], s[6:7], s[30:31]
	s_cselect_b32 s26, -1, 0
	s_cmp_lg_u32 s20, 0x7a
	s_mul_u64 s[14:15], s[14:15], s[30:31]
	s_cselect_b32 s20, -1, 0
	s_add_co_i32 s34, s22, -1
	s_delay_alu instid0(SALU_CYCLE_1)
	v_dual_lshlrev_b32 v10, 4, v0 :: v_dual_sub_nc_u32 v1, s34, v0
	s_cmp_lg_u32 s21, 0x84
	s_mul_u64 s[36:37], s[28:29], s[34:35]
	s_cselect_b32 s21, -1, 0
	s_lshl_b64 s[6:7], s[6:7], 4
	s_lshl_b64 s[18:19], s[18:19], 4
	s_lshl_b64 s[36:37], s[36:37], 4
	s_add_nc_u64 s[38:39], s[6:7], s[18:19]
	v_lshlrev_b32_e32 v1, 4, v1
	s_add_nc_u64 s[6:7], s[38:39], s[36:37]
	s_lshl_b64 s[14:15], s[14:15], 4
	s_add_nc_u64 s[6:7], s[16:17], s[6:7]
	s_add_nc_u64 s[16:17], s[16:17], s[38:39]
	s_lshl_b64 s[10:11], s[10:11], 4
	v_add_nc_u64_e32 v[14:15], s[16:17], v[10:11]
	s_mul_u64 s[16:17], s[24:25], s[34:35]
	s_add_nc_u64 s[10:11], s[14:15], s[10:11]
	s_lshl_b64 s[16:17], s[16:17], 4
	s_lshl_b32 s27, s22, 4
	s_add_nc_u64 s[14:15], s[10:11], s[16:17]
	v_add_nc_u64_e32 v[12:13], s[6:7], v[10:11]
	s_add_nc_u64 s[14:15], s[8:9], s[14:15]
	s_add_nc_u64 s[8:9], s[8:9], s[10:11]
	v_add_nc_u64_e32 v[16:17], s[14:15], v[10:11]
	v_add_nc_u64_e32 v[18:19], s[8:9], v[10:11]
	v_cmp_gt_u32_e64 s0, s22, v0
	v_add_lshl_u32 v20, v2, v0, 4
	v_dual_add_nc_u32 v21, 1, v0 :: v_dual_add_nc_u32 v22, s27, v10
	s_lshl_b64 s[6:7], s[28:29], 4
	s_lshl_b64 s[8:9], s[24:25], 4
	;; [unrolled: 1-line block ×3, first 2 shown]
	s_sub_nc_u64 s[18:19], 0, s[6:7]
	s_add_co_i32 s16, s27, 16
	s_lshl_b64 s[10:11], s[12:13], 4
	s_sub_nc_u64 s[12:13], 0, s[8:9]
	s_branch .LBB15_4
.LBB15_2:                               ;   in Loop: Header=BB15_4 Depth=1
	s_or_b32 exec_lo, exec_lo, s1
.LBB15_3:                               ;   in Loop: Header=BB15_4 Depth=1
	s_add_co_i32 s2, s2, 0x10000
	s_delay_alu instid0(SALU_CYCLE_1)
	s_cmp_lt_u32 s2, s23
	s_cbranch_scc0 .LBB15_43
.LBB15_4:                               ; =>This Loop Header: Depth=1
                                        ;     Child Loop BB15_8 Depth 2
                                        ;     Child Loop BB15_12 Depth 2
	;; [unrolled: 1-line block ×3, first 2 shown]
                                        ;       Child Loop BB15_31 Depth 3
                                        ;     Child Loop BB15_38 Depth 2
                                        ;     Child Loop BB15_42 Depth 2
	s_and_not1_b32 vcc_lo, exec_lo, s26
	s_cbranch_vccnz .LBB15_3
; %bb.5:                                ;   in Loop: Header=BB15_4 Depth=1
	s_and_saveexec_b32 s1, s0
	s_cbranch_execz .LBB15_13
; %bb.6:                                ;   in Loop: Header=BB15_4 Depth=1
	s_mul_u64 s[14:15], s[4:5], s[2:3]
	s_and_not1_b32 vcc_lo, exec_lo, s20
	s_mov_b32 s17, -1
	s_cbranch_vccnz .LBB15_10
; %bb.7:                                ;   in Loop: Header=BB15_4 Depth=1
	v_add_nc_u64_e32 v[2:3], s[14:15], v[12:13]
	v_mov_b32_e32 v4, v1
	s_mov_b32 s17, 0
	s_mov_b32 s24, s22
.LBB15_8:                               ;   Parent Loop BB15_4 Depth=1
                                        ; =>  This Inner Loop Header: Depth=2
	global_load_b128 v[6:9], v[2:3], off
	s_add_co_i32 s24, s24, -1
	s_wait_xcnt 0x0
	v_add_nc_u64_e32 v[2:3], s[18:19], v[2:3]
	v_cmp_le_u32_e32 vcc_lo, s24, v0
	s_or_b32 s17, vcc_lo, s17
	s_wait_loadcnt 0x0
	ds_store_2addr_b64 v4, v[6:7], v[8:9] offset1:1
	v_add_nc_u32_e32 v4, s27, v4
	s_and_not1_b32 exec_lo, exec_lo, s17
	s_cbranch_execnz .LBB15_8
; %bb.9:                                ;   in Loop: Header=BB15_4 Depth=1
	s_or_b32 exec_lo, exec_lo, s17
	s_mov_b32 s17, 0
.LBB15_10:                              ;   in Loop: Header=BB15_4 Depth=1
	s_delay_alu instid0(SALU_CYCLE_1)
	s_and_b32 vcc_lo, exec_lo, s17
	s_cbranch_vccz .LBB15_13
; %bb.11:                               ;   in Loop: Header=BB15_4 Depth=1
	v_add_nc_u64_e32 v[2:3], s[14:15], v[14:15]
	v_dual_mov_b32 v4, v10 :: v_dual_mov_b32 v5, v21
	s_mov_b32 s14, 0
.LBB15_12:                              ;   Parent Loop BB15_4 Depth=1
                                        ; =>  This Inner Loop Header: Depth=2
	global_load_b128 v[6:9], v[2:3], off
	v_add_nc_u32_e32 v5, -1, v5
	s_wait_xcnt 0x0
	v_add_nc_u64_e32 v[2:3], s[6:7], v[2:3]
	s_wait_loadcnt 0x0
	ds_store_2addr_b64 v4, v[6:7], v[8:9] offset1:1
	v_add_nc_u32_e32 v4, s27, v4
	v_cmp_eq_u32_e32 vcc_lo, 0, v5
	s_or_b32 s14, vcc_lo, s14
	s_delay_alu instid0(SALU_CYCLE_1)
	s_and_not1_b32 exec_lo, exec_lo, s14
	s_cbranch_execnz .LBB15_12
.LBB15_13:                              ;   in Loop: Header=BB15_4 Depth=1
	s_or_b32 exec_lo, exec_lo, s1
	s_wait_dscnt 0x0
	s_barrier_signal -1
	s_barrier_wait -1
	s_and_saveexec_b32 s14, s0
	s_cbranch_execz .LBB15_24
; %bb.14:                               ;   in Loop: Header=BB15_4 Depth=1
	s_and_not1_b32 vcc_lo, exec_lo, s21
	s_cbranch_vccnz .LBB15_22
; %bb.15:                               ;   in Loop: Header=BB15_4 Depth=1
	ds_load_b128 v[2:5], v20
	v_mov_b64_e32 v[8:9], 0
	v_mov_b64_e32 v[6:7], 1.0
	s_wait_dscnt 0x0
	v_cmp_neq_f64_e32 vcc_lo, 0, v[2:3]
	v_cmp_neq_f64_e64 s1, 0, v[4:5]
	s_or_b32 s15, vcc_lo, s1
	s_delay_alu instid0(SALU_CYCLE_1)
	s_and_saveexec_b32 s1, s15
	s_cbranch_execz .LBB15_21
; %bb.16:                               ;   in Loop: Header=BB15_4 Depth=1
	v_cmp_ngt_f64_e64 s15, |v[2:3]|, |v[4:5]|
                                        ; implicit-def: $vgpr8_vgpr9
	s_and_saveexec_b32 s17, s15
	s_delay_alu instid0(SALU_CYCLE_1)
	s_xor_b32 s15, exec_lo, s17
	s_cbranch_execz .LBB15_18
; %bb.17:                               ;   in Loop: Header=BB15_4 Depth=1
	v_div_scale_f64 v[6:7], null, v[4:5], v[4:5], v[2:3]
	v_div_scale_f64 v[26:27], vcc_lo, v[2:3], v[4:5], v[2:3]
	s_delay_alu instid0(VALU_DEP_2) | instskip(SKIP_1) | instid1(TRANS32_DEP_1)
	v_rcp_f64_e32 v[8:9], v[6:7]
	v_nop
	v_fma_f64 v[24:25], -v[6:7], v[8:9], 1.0
	s_delay_alu instid0(VALU_DEP_1) | instskip(NEXT) | instid1(VALU_DEP_1)
	v_fmac_f64_e32 v[8:9], v[8:9], v[24:25]
	v_fma_f64 v[24:25], -v[6:7], v[8:9], 1.0
	s_delay_alu instid0(VALU_DEP_1) | instskip(NEXT) | instid1(VALU_DEP_1)
	v_fmac_f64_e32 v[8:9], v[8:9], v[24:25]
	v_mul_f64_e32 v[24:25], v[26:27], v[8:9]
	s_delay_alu instid0(VALU_DEP_1) | instskip(NEXT) | instid1(VALU_DEP_1)
	v_fma_f64 v[6:7], -v[6:7], v[24:25], v[26:27]
	v_div_fmas_f64 v[6:7], v[6:7], v[8:9], v[24:25]
	s_delay_alu instid0(VALU_DEP_1) | instskip(NEXT) | instid1(VALU_DEP_1)
	v_div_fixup_f64 v[6:7], v[6:7], v[4:5], v[2:3]
	v_fmac_f64_e32 v[4:5], v[2:3], v[6:7]
	s_delay_alu instid0(VALU_DEP_1) | instskip(NEXT) | instid1(VALU_DEP_1)
	v_div_scale_f64 v[2:3], null, v[4:5], v[4:5], 1.0
	v_rcp_f64_e32 v[8:9], v[2:3]
	v_nop
	s_delay_alu instid0(TRANS32_DEP_1) | instskip(NEXT) | instid1(VALU_DEP_1)
	v_fma_f64 v[24:25], -v[2:3], v[8:9], 1.0
	v_fmac_f64_e32 v[8:9], v[8:9], v[24:25]
	s_delay_alu instid0(VALU_DEP_1) | instskip(NEXT) | instid1(VALU_DEP_1)
	v_fma_f64 v[24:25], -v[2:3], v[8:9], 1.0
	v_fmac_f64_e32 v[8:9], v[8:9], v[24:25]
	v_div_scale_f64 v[24:25], vcc_lo, 1.0, v[4:5], 1.0
	s_delay_alu instid0(VALU_DEP_1) | instskip(NEXT) | instid1(VALU_DEP_1)
	v_mul_f64_e32 v[26:27], v[24:25], v[8:9]
	v_fma_f64 v[2:3], -v[2:3], v[26:27], v[24:25]
	s_delay_alu instid0(VALU_DEP_1) | instskip(NEXT) | instid1(VALU_DEP_1)
	v_div_fmas_f64 v[2:3], v[2:3], v[8:9], v[26:27]
	v_div_fixup_f64 v[8:9], v[2:3], v[4:5], 1.0
                                        ; implicit-def: $vgpr2_vgpr3
	s_delay_alu instid0(VALU_DEP_1)
	v_mul_f64_e32 v[6:7], v[6:7], v[8:9]
	v_xor_b32_e32 v9, 0x80000000, v9
.LBB15_18:                              ;   in Loop: Header=BB15_4 Depth=1
	s_and_not1_saveexec_b32 s15, s15
	s_cbranch_execz .LBB15_20
; %bb.19:                               ;   in Loop: Header=BB15_4 Depth=1
	v_div_scale_f64 v[6:7], null, v[2:3], v[2:3], v[4:5]
	v_div_scale_f64 v[26:27], vcc_lo, v[4:5], v[2:3], v[4:5]
	s_delay_alu instid0(VALU_DEP_2) | instskip(SKIP_1) | instid1(TRANS32_DEP_1)
	v_rcp_f64_e32 v[8:9], v[6:7]
	v_nop
	v_fma_f64 v[24:25], -v[6:7], v[8:9], 1.0
	s_delay_alu instid0(VALU_DEP_1) | instskip(NEXT) | instid1(VALU_DEP_1)
	v_fmac_f64_e32 v[8:9], v[8:9], v[24:25]
	v_fma_f64 v[24:25], -v[6:7], v[8:9], 1.0
	s_delay_alu instid0(VALU_DEP_1) | instskip(NEXT) | instid1(VALU_DEP_1)
	v_fmac_f64_e32 v[8:9], v[8:9], v[24:25]
	v_mul_f64_e32 v[24:25], v[26:27], v[8:9]
	s_delay_alu instid0(VALU_DEP_1) | instskip(NEXT) | instid1(VALU_DEP_1)
	v_fma_f64 v[6:7], -v[6:7], v[24:25], v[26:27]
	v_div_fmas_f64 v[6:7], v[6:7], v[8:9], v[24:25]
	s_delay_alu instid0(VALU_DEP_1) | instskip(NEXT) | instid1(VALU_DEP_1)
	v_div_fixup_f64 v[8:9], v[6:7], v[2:3], v[4:5]
	v_fmac_f64_e32 v[2:3], v[4:5], v[8:9]
	s_delay_alu instid0(VALU_DEP_1) | instskip(NEXT) | instid1(VALU_DEP_1)
	v_div_scale_f64 v[4:5], null, v[2:3], v[2:3], 1.0
	v_rcp_f64_e32 v[6:7], v[4:5]
	v_nop
	s_delay_alu instid0(TRANS32_DEP_1) | instskip(NEXT) | instid1(VALU_DEP_1)
	v_fma_f64 v[24:25], -v[4:5], v[6:7], 1.0
	v_fmac_f64_e32 v[6:7], v[6:7], v[24:25]
	s_delay_alu instid0(VALU_DEP_1) | instskip(NEXT) | instid1(VALU_DEP_1)
	v_fma_f64 v[24:25], -v[4:5], v[6:7], 1.0
	v_fmac_f64_e32 v[6:7], v[6:7], v[24:25]
	v_div_scale_f64 v[24:25], vcc_lo, 1.0, v[2:3], 1.0
	s_delay_alu instid0(VALU_DEP_1) | instskip(NEXT) | instid1(VALU_DEP_1)
	v_mul_f64_e32 v[26:27], v[24:25], v[6:7]
	v_fma_f64 v[4:5], -v[4:5], v[26:27], v[24:25]
	s_delay_alu instid0(VALU_DEP_1) | instskip(NEXT) | instid1(VALU_DEP_1)
	v_div_fmas_f64 v[4:5], v[4:5], v[6:7], v[26:27]
	v_div_fixup_f64 v[6:7], v[4:5], v[2:3], 1.0
	s_delay_alu instid0(VALU_DEP_1)
	v_mul_f64_e64 v[8:9], v[8:9], -v[6:7]
.LBB15_20:                              ;   in Loop: Header=BB15_4 Depth=1
	s_or_b32 exec_lo, exec_lo, s15
.LBB15_21:                              ;   in Loop: Header=BB15_4 Depth=1
	s_delay_alu instid0(SALU_CYCLE_1)
	s_or_b32 exec_lo, exec_lo, s1
	s_branch .LBB15_23
.LBB15_22:                              ;   in Loop: Header=BB15_4 Depth=1
	v_mov_b64_e32 v[8:9], 0
	v_mov_b64_e32 v[6:7], 1.0
.LBB15_23:                              ;   in Loop: Header=BB15_4 Depth=1
	ds_store_b128 v20, v[6:9]
.LBB15_24:                              ;   in Loop: Header=BB15_4 Depth=1
	s_or_b32 exec_lo, exec_lo, s14
	v_mov_b32_e32 v6, v22
	s_mov_b32 s1, 0
	s_mov_b32 s14, 16
	s_wait_dscnt 0x0
	s_barrier_signal -1
	s_barrier_wait -1
	s_branch .LBB15_26
.LBB15_25:                              ;   in Loop: Header=BB15_26 Depth=2
	v_add_nc_u32_e32 v6, s27, v6
	s_add_co_i32 s14, s14, s16
	s_cmp_eq_u32 s1, s22
	s_barrier_signal -1
	s_barrier_wait -1
	s_cbranch_scc1 .LBB15_35
.LBB15_26:                              ;   Parent Loop BB15_4 Depth=1
                                        ; =>  This Loop Header: Depth=2
                                        ;       Child Loop BB15_31 Depth 3
	v_mov_b64_e32 v[2:3], 0
	v_mov_b64_e32 v[4:5], 0
	s_mul_i32 s15, s1, s22
	s_mov_b32 s17, exec_lo
	v_cmpx_lt_u32_e64 s1, v0
	s_cbranch_execz .LBB15_28
; %bb.27:                               ;   in Loop: Header=BB15_26 Depth=2
	s_lshl_b32 s24, s15, 4
	s_lshl_b32 s25, s1, 4
	v_add_nc_u32_e32 v7, s24, v10
	s_add_co_i32 s25, s25, s24
	s_delay_alu instid0(SALU_CYCLE_1)
	v_mov_b32_e32 v2, s25
	ds_load_b128 v[2:5], v2
	ds_load_b128 v[24:27], v7
	s_wait_dscnt 0x0
	v_mul_f64_e32 v[8:9], v[4:5], v[26:27]
	v_mul_f64_e32 v[26:27], v[2:3], v[26:27]
	s_delay_alu instid0(VALU_DEP_2) | instskip(NEXT) | instid1(VALU_DEP_2)
	v_fma_f64 v[2:3], v[2:3], v[24:25], -v[8:9]
	v_fmac_f64_e32 v[26:27], v[4:5], v[24:25]
	s_delay_alu instid0(VALU_DEP_2) | instskip(NEXT) | instid1(VALU_DEP_2)
	v_add_f64_e32 v[2:3], 0, v[2:3]
	v_add_f64_e32 v[4:5], 0, v[26:27]
.LBB15_28:                              ;   in Loop: Header=BB15_26 Depth=2
	s_or_b32 exec_lo, exec_lo, s17
	s_add_co_i32 s1, s1, 1
	s_delay_alu instid0(SALU_CYCLE_1)
	s_cmp_ge_i32 s1, s22
	s_barrier_signal -1
	s_barrier_wait -1
	s_cbranch_scc1 .LBB15_25
; %bb.29:                               ;   in Loop: Header=BB15_26 Depth=2
	v_lshl_add_u32 v7, s15, 4, v10
	v_mov_b32_e32 v8, v6
	s_mov_b32 s15, s14
	s_mov_b32 s17, s1
	s_branch .LBB15_31
.LBB15_30:                              ;   in Loop: Header=BB15_31 Depth=3
	s_or_b32 exec_lo, exec_lo, s24
	v_add_nc_u32_e32 v8, s27, v8
	s_add_co_i32 s17, s17, 1
	s_add_co_i32 s15, s15, 16
	s_cmp_eq_u32 s22, s17
	s_barrier_signal -1
	s_barrier_wait -1
	s_cbranch_scc1 .LBB15_25
.LBB15_31:                              ;   Parent Loop BB15_4 Depth=1
                                        ;     Parent Loop BB15_26 Depth=2
                                        ; =>    This Inner Loop Header: Depth=3
	s_mov_b32 s24, exec_lo
	v_cmpx_eq_u32_e64 s17, v0
	s_cbranch_execz .LBB15_33
; %bb.32:                               ;   in Loop: Header=BB15_31 Depth=3
	ds_load_b128 v[24:27], v20
	v_add_f64_e64 v[30:31], -v[2:3], 0
	s_wait_dscnt 0x0
	v_mul_f64_e32 v[28:29], v[4:5], v[26:27]
	v_mul_f64_e32 v[32:33], v[4:5], v[24:25]
	s_delay_alu instid0(VALU_DEP_2) | instskip(NEXT) | instid1(VALU_DEP_2)
	v_fmac_f64_e32 v[28:29], v[30:31], v[24:25]
	v_fma_f64 v[30:31], v[30:31], v[26:27], -v[32:33]
	ds_store_b128 v7, v[28:31]
.LBB15_33:                              ;   in Loop: Header=BB15_31 Depth=3
	s_or_b32 exec_lo, exec_lo, s24
	s_delay_alu instid0(SALU_CYCLE_1)
	s_mov_b32 s24, exec_lo
	s_wait_dscnt 0x0
	s_barrier_signal -1
	s_barrier_wait -1
	v_cmpx_lt_u32_e64 s17, v0
	s_cbranch_execz .LBB15_30
; %bb.34:                               ;   in Loop: Header=BB15_31 Depth=3
	v_mov_b32_e32 v9, s15
	ds_load_b128 v[24:27], v8
	ds_load_b128 v[28:31], v9
	s_wait_dscnt 0x0
	v_mul_f64_e32 v[32:33], v[30:31], v[26:27]
	v_mul_f64_e32 v[26:27], v[28:29], v[26:27]
	s_delay_alu instid0(VALU_DEP_2) | instskip(NEXT) | instid1(VALU_DEP_2)
	v_fma_f64 v[28:29], v[28:29], v[24:25], -v[32:33]
	v_fmac_f64_e32 v[26:27], v[30:31], v[24:25]
	s_delay_alu instid0(VALU_DEP_2) | instskip(NEXT) | instid1(VALU_DEP_2)
	v_add_f64_e32 v[2:3], v[2:3], v[28:29]
	v_add_f64_e32 v[4:5], v[4:5], v[26:27]
	s_branch .LBB15_30
.LBB15_35:                              ;   in Loop: Header=BB15_4 Depth=1
	s_and_saveexec_b32 s1, s0
	s_cbranch_execz .LBB15_2
; %bb.36:                               ;   in Loop: Header=BB15_4 Depth=1
	s_mul_u64 s[14:15], s[10:11], s[2:3]
	s_and_not1_b32 vcc_lo, exec_lo, s20
	s_mov_b32 s17, -1
	s_cbranch_vccnz .LBB15_40
; %bb.37:                               ;   in Loop: Header=BB15_4 Depth=1
	v_add_nc_u64_e32 v[2:3], s[14:15], v[16:17]
	v_mov_b32_e32 v4, v1
	s_mov_b32 s17, 0
	s_mov_b32 s24, s22
.LBB15_38:                              ;   Parent Loop BB15_4 Depth=1
                                        ; =>  This Inner Loop Header: Depth=2
	ds_load_2addr_b64 v[6:9], v4 offset1:1
	s_add_co_i32 s24, s24, -1
	v_add_nc_u32_e32 v4, s27, v4
	v_cmp_le_u32_e32 vcc_lo, s24, v0
	s_or_b32 s17, vcc_lo, s17
	s_wait_dscnt 0x0
	global_store_b128 v[2:3], v[6:9], off
	s_wait_xcnt 0x0
	v_add_nc_u64_e32 v[2:3], s[12:13], v[2:3]
	s_and_not1_b32 exec_lo, exec_lo, s17
	s_cbranch_execnz .LBB15_38
; %bb.39:                               ;   in Loop: Header=BB15_4 Depth=1
	s_or_b32 exec_lo, exec_lo, s17
	s_mov_b32 s17, 0
.LBB15_40:                              ;   in Loop: Header=BB15_4 Depth=1
	s_delay_alu instid0(SALU_CYCLE_1)
	s_and_b32 vcc_lo, exec_lo, s17
	s_cbranch_vccz .LBB15_2
; %bb.41:                               ;   in Loop: Header=BB15_4 Depth=1
	v_add_nc_u64_e32 v[2:3], s[14:15], v[18:19]
	v_dual_mov_b32 v4, v10 :: v_dual_mov_b32 v5, v21
	s_mov_b32 s14, 0
.LBB15_42:                              ;   Parent Loop BB15_4 Depth=1
                                        ; =>  This Inner Loop Header: Depth=2
	ds_load_2addr_b64 v[6:9], v4 offset1:1
	v_dual_add_nc_u32 v5, -1, v5 :: v_dual_add_nc_u32 v4, s27, v4
	s_delay_alu instid0(VALU_DEP_1)
	v_cmp_eq_u32_e32 vcc_lo, 0, v5
	s_or_b32 s14, vcc_lo, s14
	s_wait_dscnt 0x0
	global_store_b128 v[2:3], v[6:9], off
	s_wait_xcnt 0x0
	v_add_nc_u64_e32 v[2:3], s[8:9], v[2:3]
	s_and_not1_b32 exec_lo, exec_lo, s14
	s_cbranch_execnz .LBB15_42
	s_branch .LBB15_2
.LBB15_43:
	s_endpgm
	.section	.rodata,"a",@progbits
	.p2align	6, 0x0
	.amdhsa_kernel _ZL30rocblas_trtri_remainder_kernelILi16E19rocblas_complex_numIdEPKS1_PS1_Ev13rocblas_fill_17rocblas_diagonal_iT1_lillT2_lilli
		.amdhsa_group_segment_fixed_size 16384
		.amdhsa_private_segment_fixed_size 0
		.amdhsa_kernarg_size 100
		.amdhsa_user_sgpr_count 2
		.amdhsa_user_sgpr_dispatch_ptr 0
		.amdhsa_user_sgpr_queue_ptr 0
		.amdhsa_user_sgpr_kernarg_segment_ptr 1
		.amdhsa_user_sgpr_dispatch_id 0
		.amdhsa_user_sgpr_kernarg_preload_length 0
		.amdhsa_user_sgpr_kernarg_preload_offset 0
		.amdhsa_user_sgpr_private_segment_size 0
		.amdhsa_wavefront_size32 1
		.amdhsa_uses_dynamic_stack 0
		.amdhsa_enable_private_segment 0
		.amdhsa_system_sgpr_workgroup_id_x 1
		.amdhsa_system_sgpr_workgroup_id_y 0
		.amdhsa_system_sgpr_workgroup_id_z 1
		.amdhsa_system_sgpr_workgroup_info 0
		.amdhsa_system_vgpr_workitem_id 0
		.amdhsa_next_free_vgpr 34
		.amdhsa_next_free_sgpr 40
		.amdhsa_named_barrier_count 0
		.amdhsa_reserve_vcc 1
		.amdhsa_float_round_mode_32 0
		.amdhsa_float_round_mode_16_64 0
		.amdhsa_float_denorm_mode_32 3
		.amdhsa_float_denorm_mode_16_64 3
		.amdhsa_fp16_overflow 0
		.amdhsa_memory_ordered 1
		.amdhsa_forward_progress 1
		.amdhsa_inst_pref_size 15
		.amdhsa_round_robin_scheduling 0
		.amdhsa_exception_fp_ieee_invalid_op 0
		.amdhsa_exception_fp_denorm_src 0
		.amdhsa_exception_fp_ieee_div_zero 0
		.amdhsa_exception_fp_ieee_overflow 0
		.amdhsa_exception_fp_ieee_underflow 0
		.amdhsa_exception_fp_ieee_inexact 0
		.amdhsa_exception_int_div_zero 0
	.end_amdhsa_kernel
	.section	.text._ZL30rocblas_trtri_remainder_kernelILi16E19rocblas_complex_numIdEPKS1_PS1_Ev13rocblas_fill_17rocblas_diagonal_iT1_lillT2_lilli,"axG",@progbits,_ZL30rocblas_trtri_remainder_kernelILi16E19rocblas_complex_numIdEPKS1_PS1_Ev13rocblas_fill_17rocblas_diagonal_iT1_lillT2_lilli,comdat
.Lfunc_end15:
	.size	_ZL30rocblas_trtri_remainder_kernelILi16E19rocblas_complex_numIdEPKS1_PS1_Ev13rocblas_fill_17rocblas_diagonal_iT1_lillT2_lilli, .Lfunc_end15-_ZL30rocblas_trtri_remainder_kernelILi16E19rocblas_complex_numIdEPKS1_PS1_Ev13rocblas_fill_17rocblas_diagonal_iT1_lillT2_lilli
                                        ; -- End function
	.set _ZL30rocblas_trtri_remainder_kernelILi16E19rocblas_complex_numIdEPKS1_PS1_Ev13rocblas_fill_17rocblas_diagonal_iT1_lillT2_lilli.num_vgpr, 34
	.set _ZL30rocblas_trtri_remainder_kernelILi16E19rocblas_complex_numIdEPKS1_PS1_Ev13rocblas_fill_17rocblas_diagonal_iT1_lillT2_lilli.num_agpr, 0
	.set _ZL30rocblas_trtri_remainder_kernelILi16E19rocblas_complex_numIdEPKS1_PS1_Ev13rocblas_fill_17rocblas_diagonal_iT1_lillT2_lilli.numbered_sgpr, 40
	.set _ZL30rocblas_trtri_remainder_kernelILi16E19rocblas_complex_numIdEPKS1_PS1_Ev13rocblas_fill_17rocblas_diagonal_iT1_lillT2_lilli.num_named_barrier, 0
	.set _ZL30rocblas_trtri_remainder_kernelILi16E19rocblas_complex_numIdEPKS1_PS1_Ev13rocblas_fill_17rocblas_diagonal_iT1_lillT2_lilli.private_seg_size, 0
	.set _ZL30rocblas_trtri_remainder_kernelILi16E19rocblas_complex_numIdEPKS1_PS1_Ev13rocblas_fill_17rocblas_diagonal_iT1_lillT2_lilli.uses_vcc, 1
	.set _ZL30rocblas_trtri_remainder_kernelILi16E19rocblas_complex_numIdEPKS1_PS1_Ev13rocblas_fill_17rocblas_diagonal_iT1_lillT2_lilli.uses_flat_scratch, 0
	.set _ZL30rocblas_trtri_remainder_kernelILi16E19rocblas_complex_numIdEPKS1_PS1_Ev13rocblas_fill_17rocblas_diagonal_iT1_lillT2_lilli.has_dyn_sized_stack, 0
	.set _ZL30rocblas_trtri_remainder_kernelILi16E19rocblas_complex_numIdEPKS1_PS1_Ev13rocblas_fill_17rocblas_diagonal_iT1_lillT2_lilli.has_recursion, 0
	.set _ZL30rocblas_trtri_remainder_kernelILi16E19rocblas_complex_numIdEPKS1_PS1_Ev13rocblas_fill_17rocblas_diagonal_iT1_lillT2_lilli.has_indirect_call, 0
	.section	.AMDGPU.csdata,"",@progbits
; Kernel info:
; codeLenInByte = 1804
; TotalNumSgprs: 42
; NumVgprs: 34
; ScratchSize: 0
; MemoryBound: 0
; FloatMode: 240
; IeeeMode: 1
; LDSByteSize: 16384 bytes/workgroup (compile time only)
; SGPRBlocks: 0
; VGPRBlocks: 2
; NumSGPRsForWavesPerEU: 42
; NumVGPRsForWavesPerEU: 34
; NamedBarCnt: 0
; Occupancy: 16
; WaveLimiterHint : 0
; COMPUTE_PGM_RSRC2:SCRATCH_EN: 0
; COMPUTE_PGM_RSRC2:USER_SGPR: 2
; COMPUTE_PGM_RSRC2:TRAP_HANDLER: 0
; COMPUTE_PGM_RSRC2:TGID_X_EN: 1
; COMPUTE_PGM_RSRC2:TGID_Y_EN: 0
; COMPUTE_PGM_RSRC2:TGID_Z_EN: 1
; COMPUTE_PGM_RSRC2:TIDIG_COMP_CNT: 0
	.section	.text._ZL18rocblas_trtri_fillILi128EfPKPfEvP15_rocblas_handle13rocblas_fill_ililT1_llii,"axG",@progbits,_ZL18rocblas_trtri_fillILi128EfPKPfEvP15_rocblas_handle13rocblas_fill_ililT1_llii,comdat
	.globl	_ZL18rocblas_trtri_fillILi128EfPKPfEvP15_rocblas_handle13rocblas_fill_ililT1_llii ; -- Begin function _ZL18rocblas_trtri_fillILi128EfPKPfEvP15_rocblas_handle13rocblas_fill_ililT1_llii
	.p2align	8
	.type	_ZL18rocblas_trtri_fillILi128EfPKPfEvP15_rocblas_handle13rocblas_fill_ililT1_llii,@function
_ZL18rocblas_trtri_fillILi128EfPKPfEvP15_rocblas_handle13rocblas_fill_ililT1_llii: ; @_ZL18rocblas_trtri_fillILi128EfPKPfEvP15_rocblas_handle13rocblas_fill_ililT1_llii
; %bb.0:
	s_load_b64 s[2:3], s[0:1], 0x40
	s_bfe_u32 s4, ttmp6, 0x40014
	s_lshr_b32 s5, ttmp7, 16
	s_add_co_i32 s4, s4, 1
	s_bfe_u32 s6, ttmp6, 0x40008
	s_mul_i32 s4, s5, s4
	s_getreg_b32 s8, hwreg(HW_REG_IB_STS2, 6, 4)
	s_add_co_i32 s6, s6, s4
	s_cmp_eq_u32 s8, 0
	s_mov_b32 s13, 0
	s_cselect_b32 s33, s5, s6
	s_wait_kmcnt 0x0
	s_cmp_ge_u32 s33, s3
	s_cbranch_scc1 .LBB16_17
; %bb.1:
	s_clause 0x1
	s_load_b32 s14, s[0:1], 0x18
	s_load_b128 s[4:7], s[0:1], 0x8
	s_bfe_u32 s9, ttmp6, 0x4000c
	s_and_b32 s10, ttmp6, 15
	s_add_co_i32 s9, s9, 1
	s_add_nc_u64 s[24:25], s[0:1], 0x48
	s_mul_i32 s11, ttmp9, s9
	s_ashr_i32 s9, s2, 31
	s_add_co_i32 s10, s10, s11
	s_mov_b64 s[26:27], 0xffffffff
	s_wait_kmcnt 0x0
	s_ashr_i32 s15, s14, 31
	v_cvt_f32_u32_e32 v1, s6
	s_cmp_eq_u32 s8, 0
	s_mov_b32 s8, s2
	s_cselect_b32 s12, ttmp9, s10
	s_cvt_f32_u32 s2, s6
	v_rcp_iflag_f32_e32 v1, v1
	s_lshl_b64 s[10:11], s[12:13], 7
	s_cvt_f32_u32 s12, s7
	v_or_b32_e32 v0, s10, v0
	s_add_co_i32 s10, s5, -2
	s_mul_u64 s[16:17], s[6:7], s[8:9]
	s_fmamk_f32 s2, s12, 0x4f800000, s2
	v_mul_f32_e32 v1, 0x4f7ffffe, v1
	v_cvt_f64_i32_e32 v[2:3], s10
	s_ashr_i32 s19, s5, 31
	v_s_rcp_f32 s12, s2
	s_sub_co_i32 s2, 0, s6
	v_cvt_u32_f32_e32 v5, v1
	v_mov_b32_e32 v1, s11
	s_clause 0x1
	s_load_b128 s[8:11], s[0:1], 0x20
	s_load_b64 s[30:31], s[0:1], 0x30
	s_add_co_i32 s20, s5, -1
	s_mov_b32 s18, s5
	v_mul_lo_u32 v4, s2, v5
	s_mul_f32 s12, s12, 0x5f7ffffc
	s_ashr_i32 s21, s20, 31
	v_cmp_gt_u64_e64 s2, s[16:17], v[0:1]
	s_mul_u64 s[22:23], s[20:21], s[18:19]
	s_mul_f32 s5, s12, 0x2f800000
	s_lshl_b64 s[20:21], s[22:23], 2
	s_lshr_b64 s[22:23], s[22:23], 1
	s_add_nc_u64 s[20:21], s[20:21], -7
	s_trunc_f32 s5, s5
	s_sub_nc_u64 s[34:35], 0, s[6:7]
	v_mul_hi_u32 v6, v5, v4
	v_mov_b32_e32 v4, 0
	s_wait_xcnt 0x0
	s_fmamk_f32 s0, s5, 0xcf800000, s12
	s_cvt_u32_f32 s29, s5
	s_delay_alu instid0(SALU_CYCLE_2) | instskip(SKIP_2) | instid1(VALU_DEP_2)
	s_cvt_u32_f32 s28, s0
	s_wait_kmcnt 0x0
	s_lshl_b64 s[30:31], s[30:31], 2
	v_add_nc_u32_e32 v12, v5, v6
	s_branch .LBB16_3
.LBB16_2:                               ;   in Loop: Header=BB16_3 Depth=1
	s_or_b32 exec_lo, exec_lo, s1
	s_add_co_i32 s33, s33, 0x10000
	s_delay_alu instid0(SALU_CYCLE_1)
	s_cmp_lt_u32 s33, s3
	s_cbranch_scc0 .LBB16_17
.LBB16_3:                               ; =>This Loop Header: Depth=1
                                        ;     Child Loop BB16_6 Depth 2
	s_and_saveexec_b32 s1, s2
	s_cbranch_execz .LBB16_2
; %bb.4:                                ;   in Loop: Header=BB16_3 Depth=1
	s_load_b32 s0, s[24:25], 0xc
	s_load_b64 s[36:37], s[10:11], s33 offset:0x0 scale_offset
	s_load_b32 s12, s[24:25], 0x0
	v_mov_b64_e32 v[6:7], v[0:1]
	s_mov_b32 s39, s13
	s_mov_b32 s5, 0
	s_wait_kmcnt 0x0
	s_and_b32 s38, s0, 0xffff
	s_add_nc_u64 s[36:37], s[36:37], s[30:31]
	s_mul_u64 s[38:39], s[38:39], s[12:13]
	s_branch .LBB16_6
.LBB16_5:                               ;   in Loop: Header=BB16_6 Depth=2
	v_add_nc_u64_e32 v[6:7], s[38:39], v[6:7]
	s_delay_alu instid0(VALU_DEP_1)
	v_cmp_le_u64_e32 vcc_lo, s[16:17], v[6:7]
	s_or_b32 s5, vcc_lo, s5
	s_wait_xcnt 0x0
	s_and_not1_b32 exec_lo, exec_lo, s5
	s_cbranch_execz .LBB16_2
.LBB16_6:                               ;   Parent Loop BB16_3 Depth=1
                                        ; =>  This Inner Loop Header: Depth=2
	v_or_b32_e32 v5, s7, v7
                                        ; implicit-def: $vgpr8_vgpr9
	s_mov_b32 s0, exec_lo
	s_delay_alu instid0(VALU_DEP_1)
	v_cmpx_ne_u64_e32 0, v[4:5]
	s_xor_b32 s40, exec_lo, s0
	s_cbranch_execz .LBB16_8
; %bb.7:                                ;   in Loop: Header=BB16_6 Depth=2
	s_mul_u64 s[42:43], s[34:35], s[28:29]
	v_dual_mov_b32 v8, v6 :: v_dual_mov_b32 v9, v4
	s_mul_hi_u32 s45, s28, s43
	s_mul_i32 s44, s28, s43
	s_mul_hi_u32 s12, s28, s42
	s_mul_hi_u32 s0, s29, s42
	s_add_nc_u64 s[44:45], s[12:13], s[44:45]
	s_mul_i32 s12, s29, s42
	s_mul_hi_u32 s41, s29, s43
	s_add_co_u32 s12, s44, s12
	s_add_co_ci_u32 s12, s45, s0
	s_add_co_ci_u32 s45, s41, 0
	s_mul_i32 s44, s29, s43
	v_dual_mov_b32 v10, v7 :: v_dual_mov_b32 v11, v4
	s_add_nc_u64 s[42:43], s[12:13], s[44:45]
	v_mov_b32_e32 v17, v4
	s_add_co_u32 s42, s28, s42
	s_cselect_b32 s0, -1, 0
	s_delay_alu instid0(SALU_CYCLE_1) | instskip(SKIP_1) | instid1(SALU_CYCLE_1)
	s_cmp_lg_u32 s0, 0
	s_add_co_ci_u32 s43, s29, s43
	s_mul_u64 s[44:45], s[34:35], s[42:43]
	s_delay_alu instid0(SALU_CYCLE_1)
	s_mul_hi_u32 s47, s42, s45
	s_mul_i32 s46, s42, s45
	s_mul_hi_u32 s12, s42, s44
	s_mul_i32 s41, s43, s44
	s_add_nc_u64 s[46:47], s[12:13], s[46:47]
	s_mul_hi_u32 s0, s43, s44
	s_mul_hi_u32 s48, s43, s45
	s_add_co_u32 s12, s46, s41
	s_add_co_ci_u32 s12, s47, s0
	s_mul_i32 s44, s43, s45
	s_add_co_ci_u32 s45, s48, 0
	s_delay_alu instid0(SALU_CYCLE_1) | instskip(NEXT) | instid1(SALU_CYCLE_1)
	s_add_nc_u64 s[44:45], s[12:13], s[44:45]
	s_add_co_u32 s0, s42, s44
	s_cselect_b32 s12, -1, 0
	v_mul_hi_u32 v16, v6, s0
	s_cmp_lg_u32 s12, 0
	s_add_co_ci_u32 s12, s43, s45
	s_and_b64 s[42:43], s[0:1], s[26:27]
	v_mul_u64_e32 v[8:9], s[12:13], v[8:9]
	v_mul_u64_e32 v[14:15], s[42:43], v[10:11]
	;; [unrolled: 1-line block ×3, first 2 shown]
	s_delay_alu instid0(VALU_DEP_3) | instskip(NEXT) | instid1(VALU_DEP_1)
	v_add_nc_u64_e32 v[8:9], v[16:17], v[8:9]
	v_add_co_u32 v5, vcc_lo, v8, v14
	s_delay_alu instid0(VALU_DEP_2) | instskip(NEXT) | instid1(VALU_DEP_4)
	v_add_co_ci_u32_e32 v16, vcc_lo, v9, v15, vcc_lo
	v_add_co_ci_u32_e32 v11, vcc_lo, 0, v11, vcc_lo
	s_delay_alu instid0(VALU_DEP_1) | instskip(NEXT) | instid1(VALU_DEP_1)
	v_add_nc_u64_e32 v[8:9], v[16:17], v[10:11]
	v_mul_u64_e32 v[10:11], s[6:7], v[8:9]
	v_add_nc_u64_e32 v[14:15], 2, v[8:9]
	s_delay_alu instid0(VALU_DEP_2) | instskip(NEXT) | instid1(VALU_DEP_3)
	v_sub_nc_u32_e32 v5, v7, v11
	v_sub_co_u32 v10, vcc_lo, v6, v10
	s_delay_alu instid0(VALU_DEP_1) | instskip(NEXT) | instid1(VALU_DEP_3)
	v_sub_co_ci_u32_e64 v17, null, v7, v11, vcc_lo
	v_subrev_co_ci_u32_e64 v5, null, s7, v5, vcc_lo
	s_delay_alu instid0(VALU_DEP_3) | instskip(SKIP_1) | instid1(VALU_DEP_3)
	v_sub_co_u32 v13, s0, v10, s6
	v_cmp_le_u32_e32 vcc_lo, s6, v10
	v_subrev_co_ci_u32_e64 v5, null, 0, v5, s0
	s_delay_alu instid0(VALU_DEP_3) | instskip(SKIP_2) | instid1(VALU_DEP_4)
	v_cmp_le_u32_e64 s0, s6, v13
	v_add_nc_u64_e32 v[10:11], 1, v[8:9]
	v_cndmask_b32_e64 v18, 0, -1, vcc_lo
	v_cmp_eq_u32_e32 vcc_lo, s7, v5
	s_delay_alu instid0(VALU_DEP_4) | instskip(SKIP_1) | instid1(VALU_DEP_1)
	v_cndmask_b32_e64 v13, 0, -1, s0
	v_cmp_le_u32_e64 s0, s7, v5
	v_cndmask_b32_e64 v16, 0, -1, s0
	v_cmp_eq_u32_e64 s0, s7, v17
	s_delay_alu instid0(VALU_DEP_2) | instskip(SKIP_2) | instid1(VALU_DEP_3)
	v_cndmask_b32_e32 v5, v16, v13, vcc_lo
	v_cmp_le_u32_e32 vcc_lo, s7, v17
	v_cndmask_b32_e64 v13, 0, -1, vcc_lo
	v_cmp_ne_u32_e32 vcc_lo, 0, v5
	s_delay_alu instid0(VALU_DEP_2) | instskip(SKIP_1) | instid1(VALU_DEP_2)
	v_dual_cndmask_b32 v5, v13, v18, s0 :: v_dual_cndmask_b32 v11, v11, v15, vcc_lo
	v_cndmask_b32_e32 v10, v10, v14, vcc_lo
	v_cmp_ne_u32_e32 vcc_lo, 0, v5
	s_delay_alu instid0(VALU_DEP_2)
	v_dual_cndmask_b32 v9, v9, v11 :: v_dual_cndmask_b32 v8, v8, v10
.LBB16_8:                               ;   in Loop: Header=BB16_6 Depth=2
	s_and_not1_saveexec_b32 s0, s40
	s_cbranch_execz .LBB16_10
; %bb.9:                                ;   in Loop: Header=BB16_6 Depth=2
	v_mul_hi_u32 v5, v6, v12
	s_delay_alu instid0(VALU_DEP_1) | instskip(NEXT) | instid1(VALU_DEP_1)
	v_mul_lo_u32 v8, v5, s6
	v_dual_add_nc_u32 v9, 1, v5 :: v_dual_sub_nc_u32 v8, v6, v8
	s_delay_alu instid0(VALU_DEP_1) | instskip(SKIP_1) | instid1(VALU_DEP_2)
	v_subrev_nc_u32_e32 v10, s6, v8
	v_cmp_le_u32_e32 vcc_lo, s6, v8
	v_dual_cndmask_b32 v8, v8, v10 :: v_dual_cndmask_b32 v5, v5, v9
	s_delay_alu instid0(VALU_DEP_1) | instskip(NEXT) | instid1(VALU_DEP_2)
	v_cmp_le_u32_e32 vcc_lo, s6, v8
	v_add_nc_u32_e32 v9, 1, v5
	s_delay_alu instid0(VALU_DEP_1)
	v_dual_cndmask_b32 v8, v5, v9 :: v_dual_mov_b32 v9, v4
.LBB16_10:                              ;   in Loop: Header=BB16_6 Depth=2
	s_or_b32 exec_lo, exec_lo, s0
	s_delay_alu instid0(VALU_DEP_1) | instskip(SKIP_2) | instid1(VALU_DEP_1)
	v_mul_u64_e32 v[10:11], s[6:7], v[8:9]
	s_cmp_lt_i32 s4, 0x7a
	s_mov_b32 s0, -1
	v_sub_nc_u64_e32 v[10:11], v[6:7], v[10:11]
	s_cbranch_scc1 .LBB16_14
; %bb.11:                               ;   in Loop: Header=BB16_6 Depth=2
	s_cmp_eq_u32 s4, 0x7a
	s_cbranch_scc0 .LBB16_13
; %bb.12:                               ;   in Loop: Header=BB16_6 Depth=2
	s_delay_alu instid0(VALU_DEP_1) | instskip(NEXT) | instid1(VALU_DEP_1)
	v_lshlrev_b64_e32 v[14:15], 3, v[10:11]
	v_sub_nc_u64_e32 v[14:15], s[20:21], v[14:15]
	s_delay_alu instid0(VALU_DEP_1) | instskip(NEXT) | instid1(VALU_DEP_2)
	v_cvt_f64_u32_e32 v[16:17], v15
	v_cvt_f64_u32_e32 v[14:15], v14
	s_delay_alu instid0(VALU_DEP_2) | instskip(NEXT) | instid1(VALU_DEP_1)
	v_ldexp_f64 v[16:17], v[16:17], 32
	v_add_f64_e32 v[14:15], v[16:17], v[14:15]
	s_delay_alu instid0(VALU_DEP_1) | instskip(SKIP_1) | instid1(VALU_DEP_1)
	v_cmp_gt_f64_e32 vcc_lo, 0x10000000, v[14:15]
	v_cndmask_b32_e64 v5, 0, 0x100, vcc_lo
	v_ldexp_f64 v[14:15], v[14:15], v5
	v_cndmask_b32_e64 v5, 0, 0xffffff80, vcc_lo
	s_delay_alu instid0(VALU_DEP_2) | instskip(SKIP_1) | instid1(TRANS32_DEP_1)
	v_rsq_f64_e32 v[16:17], v[14:15]
	v_cmp_class_f64_e64 vcc_lo, v[14:15], 0x260
	v_mul_f64_e32 v[18:19], v[14:15], v[16:17]
	v_mul_f64_e32 v[16:17], 0.5, v[16:17]
	s_delay_alu instid0(VALU_DEP_1) | instskip(NEXT) | instid1(VALU_DEP_1)
	v_fma_f64 v[20:21], -v[16:17], v[18:19], 0.5
	v_fmac_f64_e32 v[18:19], v[18:19], v[20:21]
	v_fmac_f64_e32 v[16:17], v[16:17], v[20:21]
	s_delay_alu instid0(VALU_DEP_2) | instskip(NEXT) | instid1(VALU_DEP_1)
	v_fma_f64 v[20:21], -v[18:19], v[18:19], v[14:15]
	v_fmac_f64_e32 v[18:19], v[20:21], v[16:17]
	s_delay_alu instid0(VALU_DEP_1) | instskip(NEXT) | instid1(VALU_DEP_1)
	v_fma_f64 v[20:21], -v[18:19], v[18:19], v[14:15]
	v_fmac_f64_e32 v[18:19], v[20:21], v[16:17]
	s_delay_alu instid0(VALU_DEP_1) | instskip(SKIP_1) | instid1(VALU_DEP_2)
	v_ldexp_f64 v[16:17], v[18:19], v5
	v_mul_u64_e32 v[18:19], s[8:9], v[8:9]
	v_dual_cndmask_b32 v15, v17, v15 :: v_dual_cndmask_b32 v14, v16, v14
	s_delay_alu instid0(VALU_DEP_2) | instskip(NEXT) | instid1(VALU_DEP_2)
	v_lshl_add_u64 v[18:19], v[18:19], 2, s[36:37]
	v_fma_f64 v[14:15], v[14:15], 0.5, -0.5
	s_delay_alu instid0(VALU_DEP_1) | instskip(NEXT) | instid1(VALU_DEP_1)
	v_floor_f64_e32 v[14:15], v[14:15]
	v_add_f64_e64 v[14:15], v[2:3], -v[14:15]
	s_delay_alu instid0(VALU_DEP_1) | instskip(NEXT) | instid1(VALU_DEP_1)
	v_trunc_f64_e32 v[14:15], v[14:15]
	v_ldexp_f64 v[16:17], v[14:15], 0xffffffe0
	s_delay_alu instid0(VALU_DEP_1) | instskip(NEXT) | instid1(VALU_DEP_1)
	v_floor_f64_e32 v[16:17], v[16:17]
	v_fmac_f64_e32 v[14:15], 0xc1f00000, v[16:17]
	s_delay_alu instid0(VALU_DEP_1) | instskip(SKIP_1) | instid1(VALU_DEP_1)
	v_cvt_u32_f64_e32 v14, v[14:15]
	v_cvt_u32_f64_e32 v15, v[16:17]
	v_sub_nc_u64_e32 v[16:17], s[18:19], v[14:15]
	v_mul_u64_e32 v[22:23], s[14:15], v[14:15]
	s_delay_alu instid0(VALU_DEP_2) | instskip(NEXT) | instid1(VALU_DEP_1)
	v_add_nc_u64_e32 v[20:21], -1, v[16:17]
	v_mul_u64_e32 v[16:17], v[20:21], v[16:17]
	v_sub_nc_u64_e64 v[20:21], v[10:11], s[22:23]
	s_delay_alu instid0(VALU_DEP_4) | instskip(NEXT) | instid1(VALU_DEP_1)
	v_lshl_add_u64 v[18:19], v[22:23], 2, v[18:19]
	v_lshl_add_u64 v[18:19], v[20:21], 2, v[18:19]
	s_delay_alu instid0(VALU_DEP_1) | instskip(SKIP_1) | instid1(VALU_DEP_1)
	v_lshl_add_u64 v[14:15], v[14:15], 2, v[18:19]
	v_lshlrev_b64_e32 v[16:17], 1, v[16:17]
	v_and_b32_e32 v16, -4, v16
	s_delay_alu instid0(VALU_DEP_1)
	v_add_nc_u64_e32 v[14:15], v[14:15], v[16:17]
	flat_store_b32 v[14:15], v4 offset:4
.LBB16_13:                              ;   in Loop: Header=BB16_6 Depth=2
	s_mov_b32 s0, 0
.LBB16_14:                              ;   in Loop: Header=BB16_6 Depth=2
	s_delay_alu instid0(SALU_CYCLE_1)
	s_and_not1_b32 vcc_lo, exec_lo, s0
	s_cbranch_vccnz .LBB16_5
; %bb.15:                               ;   in Loop: Header=BB16_6 Depth=2
	s_cmp_lg_u32 s4, 0x79
	s_cbranch_scc1 .LBB16_5
; %bb.16:                               ;   in Loop: Header=BB16_6 Depth=2
	s_wait_xcnt 0x0
	v_lshlrev_b64_e32 v[14:15], 3, v[10:11]
	v_mul_u64_e32 v[8:9], s[8:9], v[8:9]
	s_delay_alu instid0(VALU_DEP_2) | instskip(NEXT) | instid1(VALU_DEP_3)
	v_cvt_f64_u32_e32 v[16:17], v15
	v_or_b32_e32 v5, 1, v14
	s_delay_alu instid0(VALU_DEP_1) | instskip(NEXT) | instid1(VALU_DEP_4)
	v_cvt_f64_u32_e32 v[14:15], v5
	v_lshl_add_u64 v[8:9], v[8:9], 2, s[36:37]
	s_delay_alu instid0(VALU_DEP_4) | instskip(NEXT) | instid1(VALU_DEP_1)
	v_ldexp_f64 v[16:17], v[16:17], 32
	v_add_f64_e32 v[14:15], v[16:17], v[14:15]
	s_delay_alu instid0(VALU_DEP_1) | instskip(SKIP_1) | instid1(VALU_DEP_1)
	v_cmp_gt_f64_e32 vcc_lo, 0x10000000, v[14:15]
	v_cndmask_b32_e64 v5, 0, 0x100, vcc_lo
	v_ldexp_f64 v[14:15], v[14:15], v5
	v_cndmask_b32_e64 v5, 0, 0xffffff80, vcc_lo
	s_delay_alu instid0(VALU_DEP_2) | instskip(SKIP_1) | instid1(TRANS32_DEP_1)
	v_rsq_f64_e32 v[16:17], v[14:15]
	v_cmp_class_f64_e64 vcc_lo, v[14:15], 0x260
	v_mul_f64_e32 v[18:19], v[14:15], v[16:17]
	v_mul_f64_e32 v[16:17], 0.5, v[16:17]
	s_delay_alu instid0(VALU_DEP_1) | instskip(NEXT) | instid1(VALU_DEP_1)
	v_fma_f64 v[20:21], -v[16:17], v[18:19], 0.5
	v_fmac_f64_e32 v[18:19], v[18:19], v[20:21]
	v_fmac_f64_e32 v[16:17], v[16:17], v[20:21]
	s_delay_alu instid0(VALU_DEP_2) | instskip(NEXT) | instid1(VALU_DEP_1)
	v_fma_f64 v[20:21], -v[18:19], v[18:19], v[14:15]
	v_fmac_f64_e32 v[18:19], v[20:21], v[16:17]
	s_delay_alu instid0(VALU_DEP_1) | instskip(NEXT) | instid1(VALU_DEP_1)
	v_fma_f64 v[20:21], -v[18:19], v[18:19], v[14:15]
	v_fmac_f64_e32 v[18:19], v[20:21], v[16:17]
	s_delay_alu instid0(VALU_DEP_1) | instskip(NEXT) | instid1(VALU_DEP_1)
	v_ldexp_f64 v[16:17], v[18:19], v5
	v_dual_cndmask_b32 v15, v17, v15 :: v_dual_cndmask_b32 v14, v16, v14
	s_delay_alu instid0(VALU_DEP_1) | instskip(NEXT) | instid1(VALU_DEP_1)
	v_add_f64_e32 v[14:15], -1.0, v[14:15]
	v_mul_f64_e32 v[14:15], 0.5, v[14:15]
	s_delay_alu instid0(VALU_DEP_1) | instskip(NEXT) | instid1(VALU_DEP_1)
	v_trunc_f64_e32 v[14:15], v[14:15]
	v_ldexp_f64 v[16:17], v[14:15], 0xffffffe0
	s_delay_alu instid0(VALU_DEP_1) | instskip(NEXT) | instid1(VALU_DEP_1)
	v_floor_f64_e32 v[16:17], v[16:17]
	v_fmac_f64_e32 v[14:15], 0xc1f00000, v[16:17]
	s_delay_alu instid0(VALU_DEP_1) | instskip(SKIP_1) | instid1(VALU_DEP_2)
	v_cvt_u32_f64_e32 v14, v[14:15]
	v_cvt_u32_f64_e32 v15, v[16:17]
	v_mad_nc_u64_u32 v[16:17], s14, v14, s[14:15]
	s_delay_alu instid0(VALU_DEP_2) | instskip(SKIP_1) | instid1(VALU_DEP_3)
	v_mad_nc_u64_u32 v[18:19], v14, v14, v[14:15]
	v_mul_lo_u32 v5, v14, v15
	v_mad_u32 v13, s15, v14, v17
	s_delay_alu instid0(VALU_DEP_2) | instskip(NEXT) | instid1(VALU_DEP_2)
	v_add3_u32 v19, v5, v19, v5
	v_mad_u32 v17, s14, v15, v13
	s_delay_alu instid0(VALU_DEP_2) | instskip(NEXT) | instid1(VALU_DEP_1)
	v_lshrrev_b64 v[14:15], 1, v[18:19]
	v_sub_nc_u64_e32 v[10:11], v[10:11], v[14:15]
	s_delay_alu instid0(VALU_DEP_3) | instskip(NEXT) | instid1(VALU_DEP_1)
	v_lshl_add_u64 v[8:9], v[16:17], 2, v[8:9]
	v_lshl_add_u64 v[8:9], v[10:11], 2, v[8:9]
	flat_store_b32 v[8:9], v4
	s_branch .LBB16_5
.LBB16_17:
	s_endpgm
	.section	.rodata,"a",@progbits
	.p2align	6, 0x0
	.amdhsa_kernel _ZL18rocblas_trtri_fillILi128EfPKPfEvP15_rocblas_handle13rocblas_fill_ililT1_llii
		.amdhsa_group_segment_fixed_size 0
		.amdhsa_private_segment_fixed_size 0
		.amdhsa_kernarg_size 328
		.amdhsa_user_sgpr_count 2
		.amdhsa_user_sgpr_dispatch_ptr 0
		.amdhsa_user_sgpr_queue_ptr 0
		.amdhsa_user_sgpr_kernarg_segment_ptr 1
		.amdhsa_user_sgpr_dispatch_id 0
		.amdhsa_user_sgpr_kernarg_preload_length 0
		.amdhsa_user_sgpr_kernarg_preload_offset 0
		.amdhsa_user_sgpr_private_segment_size 0
		.amdhsa_wavefront_size32 1
		.amdhsa_uses_dynamic_stack 0
		.amdhsa_enable_private_segment 0
		.amdhsa_system_sgpr_workgroup_id_x 1
		.amdhsa_system_sgpr_workgroup_id_y 0
		.amdhsa_system_sgpr_workgroup_id_z 1
		.amdhsa_system_sgpr_workgroup_info 0
		.amdhsa_system_vgpr_workitem_id 0
		.amdhsa_next_free_vgpr 24
		.amdhsa_next_free_sgpr 49
		.amdhsa_named_barrier_count 0
		.amdhsa_reserve_vcc 1
		.amdhsa_float_round_mode_32 0
		.amdhsa_float_round_mode_16_64 0
		.amdhsa_float_denorm_mode_32 3
		.amdhsa_float_denorm_mode_16_64 3
		.amdhsa_fp16_overflow 0
		.amdhsa_memory_ordered 1
		.amdhsa_forward_progress 1
		.amdhsa_inst_pref_size 15
		.amdhsa_round_robin_scheduling 0
		.amdhsa_exception_fp_ieee_invalid_op 0
		.amdhsa_exception_fp_denorm_src 0
		.amdhsa_exception_fp_ieee_div_zero 0
		.amdhsa_exception_fp_ieee_overflow 0
		.amdhsa_exception_fp_ieee_underflow 0
		.amdhsa_exception_fp_ieee_inexact 0
		.amdhsa_exception_int_div_zero 0
	.end_amdhsa_kernel
	.section	.text._ZL18rocblas_trtri_fillILi128EfPKPfEvP15_rocblas_handle13rocblas_fill_ililT1_llii,"axG",@progbits,_ZL18rocblas_trtri_fillILi128EfPKPfEvP15_rocblas_handle13rocblas_fill_ililT1_llii,comdat
.Lfunc_end16:
	.size	_ZL18rocblas_trtri_fillILi128EfPKPfEvP15_rocblas_handle13rocblas_fill_ililT1_llii, .Lfunc_end16-_ZL18rocblas_trtri_fillILi128EfPKPfEvP15_rocblas_handle13rocblas_fill_ililT1_llii
                                        ; -- End function
	.set _ZL18rocblas_trtri_fillILi128EfPKPfEvP15_rocblas_handle13rocblas_fill_ililT1_llii.num_vgpr, 24
	.set _ZL18rocblas_trtri_fillILi128EfPKPfEvP15_rocblas_handle13rocblas_fill_ililT1_llii.num_agpr, 0
	.set _ZL18rocblas_trtri_fillILi128EfPKPfEvP15_rocblas_handle13rocblas_fill_ililT1_llii.numbered_sgpr, 49
	.set _ZL18rocblas_trtri_fillILi128EfPKPfEvP15_rocblas_handle13rocblas_fill_ililT1_llii.num_named_barrier, 0
	.set _ZL18rocblas_trtri_fillILi128EfPKPfEvP15_rocblas_handle13rocblas_fill_ililT1_llii.private_seg_size, 0
	.set _ZL18rocblas_trtri_fillILi128EfPKPfEvP15_rocblas_handle13rocblas_fill_ililT1_llii.uses_vcc, 1
	.set _ZL18rocblas_trtri_fillILi128EfPKPfEvP15_rocblas_handle13rocblas_fill_ililT1_llii.uses_flat_scratch, 0
	.set _ZL18rocblas_trtri_fillILi128EfPKPfEvP15_rocblas_handle13rocblas_fill_ililT1_llii.has_dyn_sized_stack, 0
	.set _ZL18rocblas_trtri_fillILi128EfPKPfEvP15_rocblas_handle13rocblas_fill_ililT1_llii.has_recursion, 0
	.set _ZL18rocblas_trtri_fillILi128EfPKPfEvP15_rocblas_handle13rocblas_fill_ililT1_llii.has_indirect_call, 0
	.section	.AMDGPU.csdata,"",@progbits
; Kernel info:
; codeLenInByte = 1820
; TotalNumSgprs: 51
; NumVgprs: 24
; ScratchSize: 0
; MemoryBound: 0
; FloatMode: 240
; IeeeMode: 1
; LDSByteSize: 0 bytes/workgroup (compile time only)
; SGPRBlocks: 0
; VGPRBlocks: 1
; NumSGPRsForWavesPerEU: 51
; NumVGPRsForWavesPerEU: 24
; NamedBarCnt: 0
; Occupancy: 16
; WaveLimiterHint : 1
; COMPUTE_PGM_RSRC2:SCRATCH_EN: 0
; COMPUTE_PGM_RSRC2:USER_SGPR: 2
; COMPUTE_PGM_RSRC2:TRAP_HANDLER: 0
; COMPUTE_PGM_RSRC2:TGID_X_EN: 1
; COMPUTE_PGM_RSRC2:TGID_Y_EN: 0
; COMPUTE_PGM_RSRC2:TGID_Z_EN: 1
; COMPUTE_PGM_RSRC2:TIDIG_COMP_CNT: 0
	.section	.text._ZL26rocblas_trtri_small_kernelILi16EfPKPKfPKPfEv13rocblas_fill_17rocblas_diagonal_iT1_lillT2_lilli,"axG",@progbits,_ZL26rocblas_trtri_small_kernelILi16EfPKPKfPKPfEv13rocblas_fill_17rocblas_diagonal_iT1_lillT2_lilli,comdat
	.globl	_ZL26rocblas_trtri_small_kernelILi16EfPKPKfPKPfEv13rocblas_fill_17rocblas_diagonal_iT1_lillT2_lilli ; -- Begin function _ZL26rocblas_trtri_small_kernelILi16EfPKPKfPKPfEv13rocblas_fill_17rocblas_diagonal_iT1_lillT2_lilli
	.p2align	8
	.type	_ZL26rocblas_trtri_small_kernelILi16EfPKPKfPKPfEv13rocblas_fill_17rocblas_diagonal_iT1_lillT2_lilli,@function
_ZL26rocblas_trtri_small_kernelILi16EfPKPKfPKPfEv13rocblas_fill_17rocblas_diagonal_iT1_lillT2_lilli: ; @_ZL26rocblas_trtri_small_kernelILi16EfPKPKfPKPfEv13rocblas_fill_17rocblas_diagonal_iT1_lillT2_lilli
; %bb.0:
	s_load_b32 s15, s[0:1], 0x60
	s_bfe_u32 s2, ttmp6, 0x40014
	s_lshr_b32 s3, ttmp7, 16
	s_add_co_i32 s2, s2, 1
	s_bfe_u32 s4, ttmp6, 0x40008
	s_mul_i32 s2, s3, s2
	s_getreg_b32 s19, hwreg(HW_REG_IB_STS2, 6, 4)
	s_add_co_i32 s4, s4, s2
	s_cmp_eq_u32 s19, 0
	s_cselect_b32 s2, s3, s4
	s_mov_b32 s3, 0
	s_wait_kmcnt 0x0
	s_cmp_ge_u32 s2, s15
	s_cbranch_scc1 .LBB17_38
; %bb.1:
	s_clause 0x5
	s_load_b32 s20, s[0:1], 0x20
	s_load_b96 s[16:18], s[0:1], 0x40
	s_load_b96 s[12:14], s[0:1], 0x0
	s_load_b128 s[4:7], s[0:1], 0x30
	s_load_b128 s[8:11], s[0:1], 0x10
	s_load_b64 s[22:23], s[0:1], 0x58
	s_wait_xcnt 0x0
	s_bfe_u32 s1, ttmp6, 0x4000c
	s_and_b32 s0, ttmp6, 15
	s_add_co_i32 s1, s1, 1
	s_mov_b32 s25, s3
	s_mul_i32 s1, ttmp9, s1
	s_mov_b32 s31, s3
	s_add_co_i32 s1, s0, s1
	v_dual_add_nc_u32 v17, 1, v0 :: v_dual_lshlrev_b32 v4, 2, v0
	s_wait_kmcnt 0x0
	s_ashr_i32 s21, s20, 31
	s_ashr_i32 s35, s18, 31
	s_cmp_eq_u32 s19, 0
	s_mov_b32 s34, s18
	s_cselect_b32 s24, ttmp9, s1
	s_cmp_gt_i32 s14, 0
	s_mul_u64 s[4:5], s[4:5], s[24:25]
	s_cselect_b32 s1, -1, 0
	s_cmp_lg_u32 s12, 0x7a
	v_mul_lo_u32 v2, v0, s14
	s_cselect_b32 s26, -1, 0
	s_add_co_i32 s30, s14, -1
	s_delay_alu instid0(SALU_CYCLE_1)
	v_dual_mov_b32 v3, 0 :: v_dual_sub_nc_u32 v1, s30, v0
	s_cmp_lg_u32 s13, 0x84
	s_mul_u64 s[12:13], s[20:21], s[30:31]
	s_cselect_b32 s27, -1, 0
	s_lshl_b64 s[4:5], s[4:5], 2
	s_lshl_b64 s[12:13], s[12:13], 2
	v_dual_lshlrev_b32 v1, 2, v1 :: v_dual_mov_b32 v5, v3
	s_add_nc_u64 s[12:13], s[4:5], s[12:13]
	s_lshl_b64 s[10:11], s[10:11], 2
	s_mul_u64 s[18:19], s[22:23], s[24:25]
	s_add_nc_u64 s[12:13], s[12:13], s[10:11]
	s_lshl_b64 s[18:19], s[18:19], 2
	v_add_nc_u64_e32 v[6:7], s[12:13], v[4:5]
	s_lshl_b64 s[12:13], s[20:21], 2
	s_mul_u64 s[20:21], s[34:35], s[30:31]
	s_lshl_b64 s[16:17], s[16:17], 2
	s_lshl_b64 s[22:23], s[20:21], 2
	s_lshl_b32 s28, s14, 2
	s_add_nc_u64 s[22:23], s[18:19], s[22:23]
	v_cmp_gt_u32_e64 s0, s14, v0
	s_add_nc_u64 s[22:23], s[22:23], s[16:17]
	v_add_lshl_u32 v16, v2, v0, 2
	v_add_nc_u64_e32 v[8:9], s[22:23], v[4:5]
	v_add_nc_u32_e32 v18, s28, v4
	v_lshlrev_b32_e32 v2, 2, v0
	s_lshl_b64 s[22:23], s[34:35], 2
	s_sub_nc_u64 s[20:21], 0, s[12:13]
	s_add_co_i32 s29, s28, 4
	s_sub_nc_u64 s[24:25], 0, s[22:23]
	s_branch .LBB17_4
.LBB17_2:                               ;   in Loop: Header=BB17_4 Depth=1
	s_or_b32 exec_lo, exec_lo, s30
.LBB17_3:                               ;   in Loop: Header=BB17_4 Depth=1
	s_add_co_i32 s2, s2, 0x10000
	s_delay_alu instid0(SALU_CYCLE_1)
	s_cmp_lt_u32 s2, s15
	s_cbranch_scc0 .LBB17_38
.LBB17_4:                               ; =>This Loop Header: Depth=1
                                        ;     Child Loop BB17_8 Depth 2
                                        ;     Child Loop BB17_12 Depth 2
	;; [unrolled: 1-line block ×3, first 2 shown]
                                        ;       Child Loop BB17_26 Depth 3
                                        ;     Child Loop BB17_33 Depth 2
                                        ;     Child Loop BB17_37 Depth 2
	s_and_not1_b32 vcc_lo, exec_lo, s1
	s_cbranch_vccnz .LBB17_3
; %bb.5:                                ;   in Loop: Header=BB17_4 Depth=1
	v_mov_b32_e32 v5, s2
	global_load_b64 v[10:11], v5, s[6:7] scale_offset
	s_wait_xcnt 0x0
	s_and_saveexec_b32 s30, s0
	s_cbranch_execz .LBB17_13
; %bb.6:                                ;   in Loop: Header=BB17_4 Depth=1
	s_lshl_b64 s[34:35], s[2:3], 3
	s_and_not1_b32 vcc_lo, exec_lo, s26
	s_add_nc_u64 s[34:35], s[8:9], s[34:35]
	s_mov_b32 s31, -1
	global_load_b64 v[12:13], v3, s[34:35]
	s_cbranch_vccnz .LBB17_10
; %bb.7:                                ;   in Loop: Header=BB17_4 Depth=1
	s_wait_loadcnt 0x0
	v_add_nc_u64_e32 v[14:15], v[12:13], v[6:7]
	v_mov_b32_e32 v5, v1
	s_mov_b32 s31, 0
	s_mov_b32 s33, s14
.LBB17_8:                               ;   Parent Loop BB17_4 Depth=1
                                        ; =>  This Inner Loop Header: Depth=2
	flat_load_b32 v19, v[14:15]
	s_add_co_i32 s33, s33, -1
	s_wait_xcnt 0x0
	v_add_nc_u64_e32 v[14:15], s[20:21], v[14:15]
	v_cmp_le_u32_e32 vcc_lo, s33, v0
	s_or_b32 s31, vcc_lo, s31
	s_wait_loadcnt_dscnt 0x0
	ds_store_b32 v5, v19
	v_add_nc_u32_e32 v5, s28, v5
	s_and_not1_b32 exec_lo, exec_lo, s31
	s_cbranch_execnz .LBB17_8
; %bb.9:                                ;   in Loop: Header=BB17_4 Depth=1
	s_or_b32 exec_lo, exec_lo, s31
	s_mov_b32 s31, 0
.LBB17_10:                              ;   in Loop: Header=BB17_4 Depth=1
	s_delay_alu instid0(SALU_CYCLE_1)
	s_and_b32 vcc_lo, exec_lo, s31
	s_cbranch_vccz .LBB17_13
; %bb.11:                               ;   in Loop: Header=BB17_4 Depth=1
	s_wait_loadcnt 0x0
	v_add_nc_u64_e32 v[12:13], s[10:11], v[12:13]
	v_dual_mov_b32 v5, v4 :: v_dual_mov_b32 v14, v17
	s_mov_b32 s31, 0
	s_delay_alu instid0(VALU_DEP_2) | instskip(NEXT) | instid1(VALU_DEP_1)
	v_add_nc_u64_e32 v[12:13], s[4:5], v[12:13]
	v_add_nc_u64_e32 v[12:13], v[12:13], v[2:3]
.LBB17_12:                              ;   Parent Loop BB17_4 Depth=1
                                        ; =>  This Inner Loop Header: Depth=2
	flat_load_b32 v15, v[12:13]
	v_add_nc_u32_e32 v14, -1, v14
	s_wait_xcnt 0x0
	v_add_nc_u64_e32 v[12:13], s[12:13], v[12:13]
	s_wait_loadcnt_dscnt 0x0
	ds_store_b32 v5, v15
	v_add_nc_u32_e32 v5, s28, v5
	v_cmp_eq_u32_e32 vcc_lo, 0, v14
	s_or_b32 s31, vcc_lo, s31
	s_delay_alu instid0(SALU_CYCLE_1)
	s_and_not1_b32 exec_lo, exec_lo, s31
	s_cbranch_execnz .LBB17_12
.LBB17_13:                              ;   in Loop: Header=BB17_4 Depth=1
	s_wait_xcnt 0x0
	s_or_b32 exec_lo, exec_lo, s30
	; wave barrier
	s_wait_loadcnt_dscnt 0x0
	s_and_saveexec_b32 s30, s0
	s_cbranch_execz .LBB17_19
; %bb.14:                               ;   in Loop: Header=BB17_4 Depth=1
	v_mov_b32_e32 v12, 1.0
	s_and_not1_b32 vcc_lo, exec_lo, s27
	s_cbranch_vccnz .LBB17_18
; %bb.15:                               ;   in Loop: Header=BB17_4 Depth=1
	ds_load_b32 v5, v16
	v_mov_b32_e32 v12, 1.0
	s_mov_b32 s31, exec_lo
	s_wait_dscnt 0x0
	v_cmpx_neq_f32_e32 0, v5
	s_cbranch_execz .LBB17_17
; %bb.16:                               ;   in Loop: Header=BB17_4 Depth=1
	v_div_scale_f32 v12, null, v5, v5, 1.0
	s_delay_alu instid0(VALU_DEP_1) | instskip(SKIP_1) | instid1(TRANS32_DEP_1)
	v_rcp_f32_e32 v13, v12
	v_nop
	v_fma_f32 v14, -v12, v13, 1.0
	s_delay_alu instid0(VALU_DEP_1) | instskip(SKIP_1) | instid1(VALU_DEP_1)
	v_fmac_f32_e32 v13, v14, v13
	v_div_scale_f32 v14, vcc_lo, 1.0, v5, 1.0
	v_mul_f32_e32 v15, v14, v13
	s_delay_alu instid0(VALU_DEP_1) | instskip(NEXT) | instid1(VALU_DEP_1)
	v_fma_f32 v19, -v12, v15, v14
	v_fmac_f32_e32 v15, v19, v13
	s_delay_alu instid0(VALU_DEP_1) | instskip(NEXT) | instid1(VALU_DEP_1)
	v_fma_f32 v12, -v12, v15, v14
	v_div_fmas_f32 v12, v12, v13, v15
	s_delay_alu instid0(VALU_DEP_1)
	v_div_fixup_f32 v12, v12, v5, 1.0
.LBB17_17:                              ;   in Loop: Header=BB17_4 Depth=1
	s_or_b32 exec_lo, exec_lo, s31
.LBB17_18:                              ;   in Loop: Header=BB17_4 Depth=1
	ds_store_b32 v16, v12
.LBB17_19:                              ;   in Loop: Header=BB17_4 Depth=1
	s_or_b32 exec_lo, exec_lo, s30
	v_mov_b32_e32 v5, v18
	s_mov_b32 s30, 0
	s_mov_b32 s31, 4
	s_wait_dscnt 0x0
	; wave barrier
	s_branch .LBB17_21
.LBB17_20:                              ;   in Loop: Header=BB17_21 Depth=2
	v_add_nc_u32_e32 v5, s28, v5
	s_add_co_i32 s31, s31, s29
	s_cmp_eq_u32 s30, s14
	; wave barrier
	s_cbranch_scc1 .LBB17_30
.LBB17_21:                              ;   Parent Loop BB17_4 Depth=1
                                        ; =>  This Loop Header: Depth=2
                                        ;       Child Loop BB17_26 Depth 3
	v_mov_b32_e32 v12, 0
	s_mul_i32 s33, s30, s14
	s_mov_b32 s34, exec_lo
	v_cmpx_lt_u32_e64 s30, v0
	s_cbranch_execz .LBB17_23
; %bb.22:                               ;   in Loop: Header=BB17_21 Depth=2
	s_lshl_b32 s35, s30, 2
	s_lshl_b32 s36, s33, 2
	s_delay_alu instid0(SALU_CYCLE_1) | instskip(NEXT) | instid1(SALU_CYCLE_1)
	s_add_co_i32 s35, s35, s36
	v_dual_mov_b32 v13, s35 :: v_dual_add_nc_u32 v12, s36, v4
	ds_load_b32 v12, v12
	ds_load_b32 v13, v13
	s_wait_dscnt 0x0
	v_fma_f32 v12, v12, v13, 0
.LBB17_23:                              ;   in Loop: Header=BB17_21 Depth=2
	s_or_b32 exec_lo, exec_lo, s34
	s_add_co_i32 s30, s30, 1
	s_delay_alu instid0(SALU_CYCLE_1)
	s_cmp_ge_i32 s30, s14
	; wave barrier
	s_cbranch_scc1 .LBB17_20
; %bb.24:                               ;   in Loop: Header=BB17_21 Depth=2
	v_lshl_add_u32 v13, s33, 2, v4
	v_mov_b32_e32 v14, v5
	s_mov_b32 s33, s31
	s_mov_b32 s34, s30
	s_branch .LBB17_26
.LBB17_25:                              ;   in Loop: Header=BB17_26 Depth=3
	s_or_b32 exec_lo, exec_lo, s35
	v_add_nc_u32_e32 v14, s28, v14
	s_add_co_i32 s34, s34, 1
	s_add_co_i32 s33, s33, 4
	s_cmp_eq_u32 s14, s34
	; wave barrier
	s_cbranch_scc1 .LBB17_20
.LBB17_26:                              ;   Parent Loop BB17_4 Depth=1
                                        ;     Parent Loop BB17_21 Depth=2
                                        ; =>    This Inner Loop Header: Depth=3
	s_mov_b32 s35, exec_lo
	v_cmpx_eq_u32_e64 s34, v0
	s_cbranch_execz .LBB17_28
; %bb.27:                               ;   in Loop: Header=BB17_26 Depth=3
	ds_load_b32 v15, v16
	s_wait_dscnt 0x0
	v_mul_f32_e64 v15, -v12, v15
	ds_store_b32 v13, v15
.LBB17_28:                              ;   in Loop: Header=BB17_26 Depth=3
	s_or_b32 exec_lo, exec_lo, s35
	s_delay_alu instid0(SALU_CYCLE_1)
	s_mov_b32 s35, exec_lo
	s_wait_dscnt 0x0
	; wave barrier
	v_cmpx_lt_u32_e64 s34, v0
	s_cbranch_execz .LBB17_25
; %bb.29:                               ;   in Loop: Header=BB17_26 Depth=3
	v_mov_b32_e32 v15, s33
	ds_load_b32 v19, v14
	ds_load_b32 v15, v15
	s_wait_dscnt 0x0
	v_fmac_f32_e32 v12, v19, v15
	s_branch .LBB17_25
.LBB17_30:                              ;   in Loop: Header=BB17_4 Depth=1
	s_and_saveexec_b32 s30, s0
	s_cbranch_execz .LBB17_2
; %bb.31:                               ;   in Loop: Header=BB17_4 Depth=1
	s_and_not1_b32 vcc_lo, exec_lo, s26
	s_mov_b32 s31, -1
	s_cbranch_vccnz .LBB17_35
; %bb.32:                               ;   in Loop: Header=BB17_4 Depth=1
	v_add_nc_u64_e32 v[12:13], v[10:11], v[8:9]
	v_mov_b32_e32 v5, v1
	s_mov_b32 s31, 0
	s_mov_b32 s33, s14
.LBB17_33:                              ;   Parent Loop BB17_4 Depth=1
                                        ; =>  This Inner Loop Header: Depth=2
	ds_load_b32 v14, v5
	s_add_co_i32 s33, s33, -1
	v_add_nc_u32_e32 v5, s28, v5
	v_cmp_le_u32_e32 vcc_lo, s33, v0
	s_or_b32 s31, vcc_lo, s31
	s_wait_dscnt 0x0
	flat_store_b32 v[12:13], v14
	s_wait_xcnt 0x0
	v_add_nc_u64_e32 v[12:13], s[24:25], v[12:13]
	s_and_not1_b32 exec_lo, exec_lo, s31
	s_cbranch_execnz .LBB17_33
; %bb.34:                               ;   in Loop: Header=BB17_4 Depth=1
	s_or_b32 exec_lo, exec_lo, s31
	s_mov_b32 s31, 0
.LBB17_35:                              ;   in Loop: Header=BB17_4 Depth=1
	s_delay_alu instid0(SALU_CYCLE_1)
	s_and_b32 vcc_lo, exec_lo, s31
	s_cbranch_vccz .LBB17_2
; %bb.36:                               ;   in Loop: Header=BB17_4 Depth=1
	v_add_nc_u64_e32 v[10:11], s[16:17], v[10:11]
	v_dual_mov_b32 v5, v4 :: v_dual_mov_b32 v12, v17
	s_mov_b32 s31, 0
	s_delay_alu instid0(VALU_DEP_2) | instskip(NEXT) | instid1(VALU_DEP_1)
	v_add_nc_u64_e32 v[10:11], s[18:19], v[10:11]
	v_add_nc_u64_e32 v[10:11], v[10:11], v[2:3]
.LBB17_37:                              ;   Parent Loop BB17_4 Depth=1
                                        ; =>  This Inner Loop Header: Depth=2
	ds_load_b32 v13, v5
	v_dual_add_nc_u32 v12, -1, v12 :: v_dual_add_nc_u32 v5, s28, v5
	s_delay_alu instid0(VALU_DEP_1)
	v_cmp_eq_u32_e32 vcc_lo, 0, v12
	s_or_b32 s31, vcc_lo, s31
	s_wait_dscnt 0x0
	flat_store_b32 v[10:11], v13
	s_wait_xcnt 0x0
	v_add_nc_u64_e32 v[10:11], s[22:23], v[10:11]
	s_and_not1_b32 exec_lo, exec_lo, s31
	s_cbranch_execnz .LBB17_37
	s_branch .LBB17_2
.LBB17_38:
	s_endpgm
	.section	.rodata,"a",@progbits
	.p2align	6, 0x0
	.amdhsa_kernel _ZL26rocblas_trtri_small_kernelILi16EfPKPKfPKPfEv13rocblas_fill_17rocblas_diagonal_iT1_lillT2_lilli
		.amdhsa_group_segment_fixed_size 1024
		.amdhsa_private_segment_fixed_size 0
		.amdhsa_kernarg_size 100
		.amdhsa_user_sgpr_count 2
		.amdhsa_user_sgpr_dispatch_ptr 0
		.amdhsa_user_sgpr_queue_ptr 0
		.amdhsa_user_sgpr_kernarg_segment_ptr 1
		.amdhsa_user_sgpr_dispatch_id 0
		.amdhsa_user_sgpr_kernarg_preload_length 0
		.amdhsa_user_sgpr_kernarg_preload_offset 0
		.amdhsa_user_sgpr_private_segment_size 0
		.amdhsa_wavefront_size32 1
		.amdhsa_uses_dynamic_stack 0
		.amdhsa_enable_private_segment 0
		.amdhsa_system_sgpr_workgroup_id_x 1
		.amdhsa_system_sgpr_workgroup_id_y 0
		.amdhsa_system_sgpr_workgroup_id_z 1
		.amdhsa_system_sgpr_workgroup_info 0
		.amdhsa_system_vgpr_workitem_id 0
		.amdhsa_next_free_vgpr 20
		.amdhsa_next_free_sgpr 37
		.amdhsa_named_barrier_count 0
		.amdhsa_reserve_vcc 1
		.amdhsa_float_round_mode_32 0
		.amdhsa_float_round_mode_16_64 0
		.amdhsa_float_denorm_mode_32 3
		.amdhsa_float_denorm_mode_16_64 3
		.amdhsa_fp16_overflow 0
		.amdhsa_memory_ordered 1
		.amdhsa_forward_progress 1
		.amdhsa_inst_pref_size 11
		.amdhsa_round_robin_scheduling 0
		.amdhsa_exception_fp_ieee_invalid_op 0
		.amdhsa_exception_fp_denorm_src 0
		.amdhsa_exception_fp_ieee_div_zero 0
		.amdhsa_exception_fp_ieee_overflow 0
		.amdhsa_exception_fp_ieee_underflow 0
		.amdhsa_exception_fp_ieee_inexact 0
		.amdhsa_exception_int_div_zero 0
	.end_amdhsa_kernel
	.section	.text._ZL26rocblas_trtri_small_kernelILi16EfPKPKfPKPfEv13rocblas_fill_17rocblas_diagonal_iT1_lillT2_lilli,"axG",@progbits,_ZL26rocblas_trtri_small_kernelILi16EfPKPKfPKPfEv13rocblas_fill_17rocblas_diagonal_iT1_lillT2_lilli,comdat
.Lfunc_end17:
	.size	_ZL26rocblas_trtri_small_kernelILi16EfPKPKfPKPfEv13rocblas_fill_17rocblas_diagonal_iT1_lillT2_lilli, .Lfunc_end17-_ZL26rocblas_trtri_small_kernelILi16EfPKPKfPKPfEv13rocblas_fill_17rocblas_diagonal_iT1_lillT2_lilli
                                        ; -- End function
	.set _ZL26rocblas_trtri_small_kernelILi16EfPKPKfPKPfEv13rocblas_fill_17rocblas_diagonal_iT1_lillT2_lilli.num_vgpr, 20
	.set _ZL26rocblas_trtri_small_kernelILi16EfPKPKfPKPfEv13rocblas_fill_17rocblas_diagonal_iT1_lillT2_lilli.num_agpr, 0
	.set _ZL26rocblas_trtri_small_kernelILi16EfPKPKfPKPfEv13rocblas_fill_17rocblas_diagonal_iT1_lillT2_lilli.numbered_sgpr, 37
	.set _ZL26rocblas_trtri_small_kernelILi16EfPKPKfPKPfEv13rocblas_fill_17rocblas_diagonal_iT1_lillT2_lilli.num_named_barrier, 0
	.set _ZL26rocblas_trtri_small_kernelILi16EfPKPKfPKPfEv13rocblas_fill_17rocblas_diagonal_iT1_lillT2_lilli.private_seg_size, 0
	.set _ZL26rocblas_trtri_small_kernelILi16EfPKPKfPKPfEv13rocblas_fill_17rocblas_diagonal_iT1_lillT2_lilli.uses_vcc, 1
	.set _ZL26rocblas_trtri_small_kernelILi16EfPKPKfPKPfEv13rocblas_fill_17rocblas_diagonal_iT1_lillT2_lilli.uses_flat_scratch, 0
	.set _ZL26rocblas_trtri_small_kernelILi16EfPKPKfPKPfEv13rocblas_fill_17rocblas_diagonal_iT1_lillT2_lilli.has_dyn_sized_stack, 0
	.set _ZL26rocblas_trtri_small_kernelILi16EfPKPKfPKPfEv13rocblas_fill_17rocblas_diagonal_iT1_lillT2_lilli.has_recursion, 0
	.set _ZL26rocblas_trtri_small_kernelILi16EfPKPKfPKPfEv13rocblas_fill_17rocblas_diagonal_iT1_lillT2_lilli.has_indirect_call, 0
	.section	.AMDGPU.csdata,"",@progbits
; Kernel info:
; codeLenInByte = 1328
; TotalNumSgprs: 39
; NumVgprs: 20
; ScratchSize: 0
; MemoryBound: 0
; FloatMode: 240
; IeeeMode: 1
; LDSByteSize: 1024 bytes/workgroup (compile time only)
; SGPRBlocks: 0
; VGPRBlocks: 1
; NumSGPRsForWavesPerEU: 39
; NumVGPRsForWavesPerEU: 20
; NamedBarCnt: 0
; Occupancy: 16
; WaveLimiterHint : 0
; COMPUTE_PGM_RSRC2:SCRATCH_EN: 0
; COMPUTE_PGM_RSRC2:USER_SGPR: 2
; COMPUTE_PGM_RSRC2:TRAP_HANDLER: 0
; COMPUTE_PGM_RSRC2:TGID_X_EN: 1
; COMPUTE_PGM_RSRC2:TGID_Y_EN: 0
; COMPUTE_PGM_RSRC2:TGID_Z_EN: 1
; COMPUTE_PGM_RSRC2:TIDIG_COMP_CNT: 0
	.section	.text._ZL29rocblas_trtri_diagonal_kernelILi16EfPKPKfPKPfEv13rocblas_fill_17rocblas_diagonal_iT1_lillT2_lilli,"axG",@progbits,_ZL29rocblas_trtri_diagonal_kernelILi16EfPKPKfPKPfEv13rocblas_fill_17rocblas_diagonal_iT1_lillT2_lilli,comdat
	.globl	_ZL29rocblas_trtri_diagonal_kernelILi16EfPKPKfPKPfEv13rocblas_fill_17rocblas_diagonal_iT1_lillT2_lilli ; -- Begin function _ZL29rocblas_trtri_diagonal_kernelILi16EfPKPKfPKPfEv13rocblas_fill_17rocblas_diagonal_iT1_lillT2_lilli
	.p2align	8
	.type	_ZL29rocblas_trtri_diagonal_kernelILi16EfPKPKfPKPfEv13rocblas_fill_17rocblas_diagonal_iT1_lillT2_lilli,@function
_ZL29rocblas_trtri_diagonal_kernelILi16EfPKPKfPKPfEv13rocblas_fill_17rocblas_diagonal_iT1_lillT2_lilli: ; @_ZL29rocblas_trtri_diagonal_kernelILi16EfPKPKfPKPfEv13rocblas_fill_17rocblas_diagonal_iT1_lillT2_lilli
; %bb.0:
	s_load_b32 s7, s[0:1], 0x60
	s_bfe_u32 s2, ttmp6, 0x40014
	s_lshr_b32 s3, ttmp7, 16
	s_add_co_i32 s2, s2, 1
	s_bfe_u32 s4, ttmp6, 0x40008
	s_mul_i32 s2, s3, s2
	s_getreg_b32 s20, hwreg(HW_REG_IB_STS2, 6, 4)
	s_add_co_i32 s4, s4, s2
	s_cmp_eq_u32 s20, 0
	s_mov_b32 s19, 0
	s_cselect_b32 s33, s3, s4
	s_wait_kmcnt 0x0
	s_cmp_ge_u32 s33, s7
	s_cbranch_scc1 .LBB18_81
; %bb.1:
	s_clause 0x2
	s_load_b96 s[4:6], s[0:1], 0x0
	s_load_b128 s[8:11], s[0:1], 0x10
	s_load_b32 s26, s[0:1], 0x20
	s_bfe_u32 s22, ttmp6, 0x4000c
	v_cvt_f32_ubyte0_e32 v4, v0
	s_add_co_i32 s22, s22, 1
	s_mov_b32 s29, s19
	s_mul_i32 s22, ttmp9, s22
	v_dual_mov_b32 v3, 0 :: v_dual_lshlrev_b32 v2, 2, v0
	s_delay_alu instid0(VALU_DEP_1) | instskip(SKIP_4) | instid1(SALU_CYCLE_1)
	v_mov_b32_e32 v5, v3
	s_wait_kmcnt 0x0
	s_ashr_i32 s2, s6, 31
	s_ashr_i32 s27, s26, 31
	s_lshr_b32 s2, s2, 27
	s_add_co_i32 s2, s6, s2
	s_delay_alu instid0(SALU_CYCLE_1) | instskip(NEXT) | instid1(SALU_CYCLE_1)
	s_ashr_i32 s28, s2, 5
	s_cvt_f32_u32 s2, s28
	s_delay_alu instid0(SALU_CYCLE_3)
	v_rcp_iflag_f32_e32 v1, s2
	s_clause 0x2
	s_load_b96 s[16:18], s[0:1], 0x40
	s_load_b128 s[12:15], s[0:1], 0x30
	s_load_b64 s[2:3], s[0:1], 0x58
	s_wait_xcnt 0x0
	s_and_b32 s0, ttmp6, 15
	s_mov_b32 s1, s19
	s_add_co_i32 s0, s0, s22
	s_sub_co_i32 s22, 0, s28
	v_nop
	v_readfirstlane_b32 s21, v1
	v_mov_b32_e32 v1, v3
	s_mul_f32 s21, s21, 0x4f7ffffe
	s_delay_alu instid0(SALU_CYCLE_3) | instskip(SKIP_2) | instid1(SALU_CYCLE_1)
	s_cvt_u32_f32 s21, s21
	s_wait_kmcnt 0x0
	s_ashr_i32 s37, s18, 31
	s_mul_i32 s22, s22, s21
	s_mov_b32 s36, s18
	s_mul_hi_u32 s24, s21, s22
	s_lshl_b64 s[22:23], s[26:27], 5
	s_add_co_i32 s24, s21, s24
	s_cmp_eq_u32 s20, 0
	s_add_nc_u64 s[22:23], s[22:23], 32
	s_cselect_b32 s20, ttmp9, s0
	s_mov_b32 s21, s19
	s_mul_hi_u32 s0, s20, s24
	s_delay_alu instid0(SALU_CYCLE_1) | instskip(SKIP_2) | instid1(SALU_CYCLE_1)
	s_mul_i32 s24, s0, s28
	s_add_co_i32 s25, s0, 1
	s_sub_co_i32 s24, s20, s24
	s_sub_co_i32 s30, s24, s28
	s_cmp_ge_u32 s24, s28
	s_cselect_b32 s0, s25, s0
	s_cselect_b32 s18, s30, s24
	s_add_co_i32 s24, s0, 1
	s_cmp_ge_u32 s18, s28
	s_cselect_b32 s0, s24, s0
	s_lshl_b64 s[24:25], s[36:37], 5
	s_mul_i32 s18, s0, s28
	s_mul_u64 s[38:39], s[12:13], s[0:1]
	s_sub_co_i32 s18, s20, s18
	s_mul_u64 s[30:31], s[2:3], s[0:1]
	s_lshl_b32 s0, s18, 4
	s_add_nc_u64 s[12:13], s[24:25], 32
	s_sub_co_i32 s1, s6, s0
	s_mul_u64 s[24:25], s[22:23], s[18:19]
	s_mul_u64 s[34:35], s[12:13], s[18:19]
	s_min_u32 s18, s1, 16
	s_cmp_lg_u32 s6, s0
	v_cvt_f32_ubyte0_e32 v10, s18
	s_mul_u64 s[2:3], s[18:19], s[26:27]
	s_cselect_b32 s40, -1, 0
	s_lshl_b32 s6, s18, 1
	s_add_nc_u64 s[44:45], s[2:3], s[18:19]
	v_rcp_iflag_f32_e32 v12, v10
	v_mov_b32_e32 v6, s18
	v_cmp_gt_u32_e64 s2, s6, v0
	v_cmp_gt_u32_e32 vcc_lo, s18, v0
	s_mul_u64 s[12:13], s[18:19], s[36:37]
	s_cmp_lg_u32 s4, 0x7a
	s_add_nc_u64 s[46:47], s[12:13], s[18:19]
	v_dual_mul_f32 v12, v4, v12 :: v_dual_cndmask_b32 v13, s6, v6, s2
	v_cndmask_b32_e64 v7, 0, 0xc00, s2
	v_cndmask_b32_e64 v9, s45, 0, vcc_lo
	v_cndmask_b32_e64 v8, s44, 0, vcc_lo
	s_delay_alu instid0(VALU_DEP_4) | instskip(SKIP_4) | instid1(VALU_DEP_4)
	v_trunc_f32_e32 v12, v12
	v_cndmask_b32_e64 v21, v13, 0, vcc_lo
	v_cndmask_b32_e64 v11, v7, 0x800, vcc_lo
	;; [unrolled: 1-line block ×4, first 2 shown]
	v_dual_fma_f32 v4, -v12, v10, v4 :: v_dual_lshlrev_b32 v20, 2, v21
	v_cvt_u32_f32_e32 v12, v12
	s_cselect_b32 s41, -1, 0
	s_cmp_lg_u32 s5, 0x84
	s_delay_alu instid0(VALU_DEP_2)
	v_cmp_ge_f32_e64 vcc_lo, |v4|, v10
	s_cselect_b32 s42, -1, 0
	s_add_co_i32 s28, s18, -1
	v_cmp_le_u32_e64 s3, s6, v0
	s_lshl_b64 s[22:23], s[38:39], 2
	v_add_co_ci_u32_e64 v12, null, 0, v12, vcc_lo
	s_lshl_b64 s[24:25], s[24:25], 2
	s_mul_i32 s6, s18, s28
	s_lshl_b64 s[38:39], s[28:29], 2
	s_mul_u64 s[28:29], s[26:27], s[28:29]
	v_lshlrev_b64_e32 v[8:9], 2, v[8:9]
	s_add_nc_u64 s[4:5], s[22:23], s[24:25]
	s_lshl_b64 s[28:29], s[28:29], 2
	v_mul_lo_u16 v10, v12, s18
	s_lshl_b64 s[10:11], s[10:11], 2
	s_add_nc_u64 s[28:29], s[4:5], s[28:29]
	s_mul_i32 s0, s18, 3
	s_mul_i32 s1, s18, s18
	s_add_nc_u64 s[28:29], s[10:11], s[28:29]
	v_cmp_gt_u32_e64 s0, s0, v0
	v_cmp_gt_u32_e64 s1, s1, v0
	v_sub_nc_u32_e32 v4, v0, v21
	v_sub_nc_u16 v0, v0, v10
	v_add_nc_u64_e32 v[14:15], s[28:29], v[8:9]
	s_lshl_b32 s20, s18, 2
	v_lshl_add_u32 v18, s6, 2, v2
	s_add_co_i32 s43, s18, 1
	s_add_nc_u64 s[38:39], s[20:21], s[38:39]
	v_and_b32_e32 v10, 0xffff, v0
	v_and_b32_e32 v0, 0xffff, v12
	s_add_nc_u64 s[44:45], s[10:11], s[4:5]
	s_mul_u64 s[38:39], s[38:39], s[26:27]
	v_mul_i32_i24_e32 v13, s43, v4
	v_add_nc_u64_e32 v[16:17], s[44:45], v[8:9]
	v_dual_add_nc_u32 v8, s18, v4 :: v_dual_lshlrev_b32 v32, 2, v10
	v_dual_sub_nc_u32 v18, v18, v20 :: v_dual_add_nc_u32 v24, s18, v10
	v_add_nc_u64_e32 v[22:23], v[14:15], v[2:3]
	s_add_nc_u64 s[4:5], s[4:5], s[38:39]
	v_lshlrev_b32_e32 v33, 6, v0
	v_add_lshl_u32 v28, v21, s18, 2
	v_mov_b32_e32 v21, v3
	s_add_nc_u64 s[38:39], s[4:5], s[10:11]
	v_lshl_add_u32 v31, v13, 2, v11
	v_cmp_gt_u16_e64 s6, 16, v12
	v_mul_u64_e32 v[12:13], s[36:37], v[0:1]
	v_dual_ashrrev_i32 v9, 31, v8 :: v_dual_add_nc_u32 v34, v11, v18
	v_add_nc_u64_e32 v[18:19], s[38:39], v[2:3]
	s_add_nc_u64 s[38:39], s[18:19], -1
	v_add_nc_u64_e32 v[26:27], v[16:17], v[2:3]
	v_sub_nc_u32_e32 v28, v28, v2
	v_sub_nc_u64_e32 v[16:17], v[22:23], v[20:21]
	v_add_nc_u32_e32 v22, s20, v2
	s_mul_u64 s[38:39], s[38:39], s[36:37]
	s_lshl_b64 s[30:31], s[30:31], 2
	s_lshl_b64 s[38:39], s[38:39], 2
	v_dual_sub_nc_u32 v23, s20, v32 :: v_dual_bitop2_b32 v36, 4, v11 bitop3:0x54
	s_add_nc_u64 s[38:39], s[38:39], s[30:31]
	s_lshl_b64 s[34:35], s[34:35], 2
	v_mul_u32_u24_e32 v25, s18, v0
	v_sub_nc_u32_e32 v22, v22, v20
	s_add_nc_u64 s[38:39], s[38:39], s[34:35]
	s_lshl_b64 s[16:17], s[16:17], 2
	v_sub_nc_u64_e32 v[14:15], v[18:19], v[20:21]
	v_sub_nc_u64_e32 v[18:19], v[26:27], v[20:21]
	v_mul_lo_u32 v26, s18, v23
	s_add_nc_u64 s[38:39], s[16:17], s[38:39]
	v_dual_lshlrev_b32 v25, 2, v25 :: v_dual_add_nc_u32 v37, v11, v22
	v_add_nc_u32_e32 v39, -1, v0
	v_lshl_add_u64 v[22:23], v[6:7], 2, s[38:39]
	s_movk_i32 s19, 0x44
	v_lshl_add_u32 v30, v4, 2, v11
	v_cmp_gt_i32_e64 s4, s18, v4
	v_cmp_lt_i32_e64 s5, -1, v4
	v_add_nc_u64_e32 v[22:23], v[22:23], v[2:3]
	v_dual_sub_nc_u32 v26, v26, v32 :: v_dual_add_nc_u32 v41, v33, v32
	v_add_nc_u32_e32 v1, 0x400, v32
	v_add3_u32 v35, v28, v11, -4
	v_sub_nc_u32_e32 v38, 0xffc, v33
	v_mad_u32_u24 v40, v0, s19, 0x800
	v_sub_nc_u64_e32 v[20:21], v[22:23], v[20:21]
	v_dual_add_nc_u32 v42, -1, v10 :: v_dual_add_nc_u32 v47, 1, v4
	v_add3_u32 v43, v25, v32, 0x400
	v_add_nc_u32_e32 v44, 0x7fc, v26
	v_add_nc_u32_e32 v45, 0x400, v25
	;; [unrolled: 1-line block ×3, first 2 shown]
	v_dual_lshlrev_b32 v22, 2, v10 :: v_dual_lshlrev_b32 v2, 2, v24
	s_lshl_b64 s[26:27], s[26:27], 2
	s_lshl_b64 s[36:37], s[36:37], 2
	s_sub_co_i32 s21, 0, s20
	s_sub_nc_u64 s[28:29], 0, s[26:27]
	s_add_co_i32 s19, s20, 4
	s_sub_nc_u64 s[38:39], 0, s[36:37]
	s_branch .LBB18_4
.LBB18_2:                               ;   in Loop: Header=BB18_4 Depth=1
	s_or_b32 exec_lo, exec_lo, s44
.LBB18_3:                               ;   in Loop: Header=BB18_4 Depth=1
	s_add_co_i32 s33, s33, 0x10000
	s_delay_alu instid0(SALU_CYCLE_1)
	s_cmp_lt_u32 s33, s7
	s_cbranch_scc0 .LBB18_81
.LBB18_4:                               ; =>This Loop Header: Depth=1
                                        ;     Child Loop BB18_9 Depth 2
                                        ;     Child Loop BB18_13 Depth 2
	;; [unrolled: 1-line block ×5, first 2 shown]
                                        ;       Child Loop BB18_41 Depth 3
                                        ;     Child Loop BB18_48 Depth 2
                                        ;     Child Loop BB18_55 Depth 2
	;; [unrolled: 1-line block ×6, first 2 shown]
	s_and_not1_b32 vcc_lo, exec_lo, s40
	s_cbranch_vccnz .LBB18_3
; %bb.5:                                ;   in Loop: Header=BB18_4 Depth=1
	v_mov_b32_e32 v23, s33
	s_clause 0x1
	global_load_b64 v[26:27], v23, s[8:9] scale_offset
	global_load_b64 v[24:25], v23, s[14:15] scale_offset
	s_wait_xcnt 0x0
	s_and_saveexec_b32 s44, s3
	s_delay_alu instid0(SALU_CYCLE_1)
	s_xor_b32 s44, exec_lo, s44
	s_cbranch_execz .LBB18_15
; %bb.6:                                ;   in Loop: Header=BB18_4 Depth=1
	s_and_saveexec_b32 s45, s0
	s_cbranch_execz .LBB18_14
; %bb.7:                                ;   in Loop: Header=BB18_4 Depth=1
	s_and_not1_b32 vcc_lo, exec_lo, s41
	s_mov_b32 s46, -1
	s_cbranch_vccnz .LBB18_11
; %bb.8:                                ;   in Loop: Header=BB18_4 Depth=1
	s_wait_loadcnt 0x1
	v_add_nc_u64_e32 v[28:29], v[26:27], v[14:15]
	v_mov_b32_e32 v23, v34
	s_mov_b32 s46, s43
.LBB18_9:                               ;   Parent Loop BB18_4 Depth=1
                                        ; =>  This Inner Loop Header: Depth=2
	flat_load_b32 v48, v[28:29]
	s_wait_xcnt 0x0
	v_add_nc_u64_e32 v[28:29], s[28:29], v[28:29]
	s_add_co_i32 s46, s46, -1
	s_delay_alu instid0(SALU_CYCLE_1)
	s_cmp_gt_u32 s46, 1
	s_wait_loadcnt_dscnt 0x0
	ds_store_b32 v23, v48
	v_add_nc_u32_e32 v23, s21, v23
	s_cbranch_scc1 .LBB18_9
; %bb.10:                               ;   in Loop: Header=BB18_4 Depth=1
	s_mov_b32 s46, 0
.LBB18_11:                              ;   in Loop: Header=BB18_4 Depth=1
	s_delay_alu instid0(SALU_CYCLE_1)
	s_and_b32 vcc_lo, exec_lo, s46
	s_cbranch_vccz .LBB18_14
; %bb.12:                               ;   in Loop: Header=BB18_4 Depth=1
	s_wait_loadcnt 0x1
	v_add_nc_u64_e32 v[26:27], s[10:11], v[26:27]
	v_mov_b32_e32 v23, v30
	s_mov_b32 s46, s18
	s_delay_alu instid0(VALU_DEP_2) | instskip(NEXT) | instid1(VALU_DEP_1)
	v_add_nc_u64_e32 v[26:27], s[24:25], v[26:27]
	v_add_nc_u64_e32 v[26:27], s[22:23], v[26:27]
	s_delay_alu instid0(VALU_DEP_1)
	v_lshl_add_u64 v[26:27], v[8:9], 2, v[26:27]
.LBB18_13:                              ;   Parent Loop BB18_4 Depth=1
                                        ; =>  This Inner Loop Header: Depth=2
	flat_load_b32 v28, v[26:27]
	s_wait_xcnt 0x0
	v_add_nc_u64_e32 v[26:27], s[26:27], v[26:27]
	s_add_co_i32 s46, s46, -1
	s_delay_alu instid0(SALU_CYCLE_1)
	s_cmp_eq_u32 s46, 0
	s_wait_loadcnt_dscnt 0x0
	ds_store_b32 v23, v28
	v_add_nc_u32_e32 v23, s20, v23
	s_cbranch_scc0 .LBB18_13
.LBB18_14:                              ;   in Loop: Header=BB18_4 Depth=1
	s_or_b32 exec_lo, exec_lo, s45
                                        ; implicit-def: $vgpr26_vgpr27
.LBB18_15:                              ;   in Loop: Header=BB18_4 Depth=1
	s_and_not1_saveexec_b32 s44, s44
	s_cbranch_execz .LBB18_27
; %bb.16:                               ;   in Loop: Header=BB18_4 Depth=1
	s_and_b32 vcc_lo, exec_lo, s41
	s_mov_b32 s45, -1
	s_cbranch_vccz .LBB18_22
; %bb.17:                               ;   in Loop: Header=BB18_4 Depth=1
	s_wait_loadcnt 0x1
	v_add_nc_u64_e32 v[28:29], v[26:27], v[16:17]
	v_mov_b32_e32 v23, v35
	s_mov_b32 s45, s18
	s_branch .LBB18_19
.LBB18_18:                              ;   in Loop: Header=BB18_19 Depth=2
	s_wait_xcnt 0x0
	s_or_b32 exec_lo, exec_lo, s46
	v_add_nc_u64_e32 v[28:29], s[28:29], v[28:29]
	s_wait_loadcnt_dscnt 0x0
	ds_store_b32 v23, v48
	v_add_nc_u32_e32 v23, s20, v23
	s_cmp_lt_i32 s45, 1
	s_cbranch_scc1 .LBB18_21
.LBB18_19:                              ;   Parent Loop BB18_4 Depth=1
                                        ; =>  This Inner Loop Header: Depth=2
	v_mov_b32_e32 v48, 0
	s_add_co_i32 s45, s45, -1
	s_mov_b32 s46, exec_lo
	v_cmpx_ge_i32_e64 s45, v4
	s_cbranch_execz .LBB18_18
; %bb.20:                               ;   in Loop: Header=BB18_19 Depth=2
	flat_load_b32 v48, v[28:29]
	s_branch .LBB18_18
.LBB18_21:                              ;   in Loop: Header=BB18_4 Depth=1
	s_mov_b32 s45, 0
.LBB18_22:                              ;   in Loop: Header=BB18_4 Depth=1
	s_delay_alu instid0(SALU_CYCLE_1)
	s_and_b32 vcc_lo, exec_lo, s45
	s_cbranch_vccz .LBB18_27
; %bb.23:                               ;   in Loop: Header=BB18_4 Depth=1
	s_wait_loadcnt 0x1
	v_add_nc_u64_e32 v[26:27], v[26:27], v[18:19]
	v_mov_b32_e32 v23, v30
	s_mov_b32 s45, 0
	s_branch .LBB18_25
.LBB18_24:                              ;   in Loop: Header=BB18_25 Depth=2
	s_wait_xcnt 0x0
	s_or_b32 exec_lo, exec_lo, s46
	v_add_nc_u64_e32 v[26:27], s[26:27], v[26:27]
	s_wait_loadcnt_dscnt 0x0
	ds_store_b32 v23, v28
	v_add_nc_u32_e32 v23, s20, v23
	s_add_co_i32 s45, s45, 1
	s_delay_alu instid0(SALU_CYCLE_1)
	s_cmp_eq_u32 s18, s45
	s_cbranch_scc1 .LBB18_27
.LBB18_25:                              ;   Parent Loop BB18_4 Depth=1
                                        ; =>  This Inner Loop Header: Depth=2
	v_mov_b32_e32 v28, 0
	s_mov_b32 s46, exec_lo
	v_cmpx_le_i32_e64 s45, v4
	s_cbranch_execz .LBB18_24
; %bb.26:                               ;   in Loop: Header=BB18_25 Depth=2
	flat_load_b32 v28, v[26:27]
	s_branch .LBB18_24
.LBB18_27:                              ;   in Loop: Header=BB18_4 Depth=1
	s_or_b32 exec_lo, exec_lo, s44
	s_wait_loadcnt_dscnt 0x0
	s_barrier_signal -1
	s_barrier_wait -1
	s_and_saveexec_b32 s44, s2
	s_cbranch_execz .LBB18_33
; %bb.28:                               ;   in Loop: Header=BB18_4 Depth=1
	v_mov_b32_e32 v26, 1.0
	s_and_not1_b32 vcc_lo, exec_lo, s42
	s_cbranch_vccnz .LBB18_32
; %bb.29:                               ;   in Loop: Header=BB18_4 Depth=1
	ds_load_b32 v23, v31
	v_mov_b32_e32 v26, 1.0
	s_mov_b32 s45, exec_lo
	s_wait_dscnt 0x0
	v_cmpx_neq_f32_e32 0, v23
	s_cbranch_execz .LBB18_31
; %bb.30:                               ;   in Loop: Header=BB18_4 Depth=1
	v_div_scale_f32 v26, null, v23, v23, 1.0
	s_delay_alu instid0(VALU_DEP_1) | instskip(SKIP_1) | instid1(TRANS32_DEP_1)
	v_rcp_f32_e32 v27, v26
	v_nop
	v_fma_f32 v28, -v26, v27, 1.0
	s_delay_alu instid0(VALU_DEP_1) | instskip(SKIP_1) | instid1(VALU_DEP_1)
	v_fmac_f32_e32 v27, v28, v27
	v_div_scale_f32 v28, vcc_lo, 1.0, v23, 1.0
	v_mul_f32_e32 v29, v28, v27
	s_delay_alu instid0(VALU_DEP_1) | instskip(NEXT) | instid1(VALU_DEP_1)
	v_fma_f32 v48, -v26, v29, v28
	v_fmac_f32_e32 v29, v48, v27
	s_delay_alu instid0(VALU_DEP_1) | instskip(NEXT) | instid1(VALU_DEP_1)
	v_fma_f32 v26, -v26, v29, v28
	v_div_fmas_f32 v26, v26, v27, v29
	s_delay_alu instid0(VALU_DEP_1)
	v_div_fixup_f32 v26, v26, v23, 1.0
.LBB18_31:                              ;   in Loop: Header=BB18_4 Depth=1
	s_or_b32 exec_lo, exec_lo, s45
.LBB18_32:                              ;   in Loop: Header=BB18_4 Depth=1
	ds_store_b32 v31, v26
.LBB18_33:                              ;   in Loop: Header=BB18_4 Depth=1
	s_or_b32 exec_lo, exec_lo, s44
	s_wait_dscnt 0x0
	s_barrier_signal -1
	s_barrier_wait -1
	s_and_saveexec_b32 s44, s2
	s_cbranch_execz .LBB18_45
; %bb.34:                               ;   in Loop: Header=BB18_4 Depth=1
	v_dual_mov_b32 v23, v37 :: v_dual_mov_b32 v26, v36
	s_mov_b32 s45, 0
	s_branch .LBB18_36
.LBB18_35:                              ;   in Loop: Header=BB18_36 Depth=2
	v_dual_add_nc_u32 v26, s19, v26 :: v_dual_add_nc_u32 v23, s20, v23
	s_cmp_eq_u32 s45, s18
	s_cbranch_scc1 .LBB18_45
.LBB18_36:                              ;   Parent Loop BB18_4 Depth=1
                                        ; =>  This Loop Header: Depth=2
                                        ;       Child Loop BB18_41 Depth 3
	v_mov_b32_e32 v27, 0
	s_mul_i32 s46, s45, s18
	s_mov_b32 s47, exec_lo
	v_cmpx_lt_i32_e64 s45, v4
	s_cbranch_execz .LBB18_38
; %bb.37:                               ;   in Loop: Header=BB18_36 Depth=2
	s_lshl_b32 s48, s46, 2
	s_lshl_b32 s49, s45, 2
	v_add_nc_u32_e32 v27, s48, v30
	v_add3_u32 v28, s48, s49, v11
	ds_load_b32 v27, v27
	ds_load_b32 v28, v28
	s_wait_dscnt 0x0
	v_fma_f32 v27, v27, v28, 0
.LBB18_38:                              ;   in Loop: Header=BB18_36 Depth=2
	s_or_b32 exec_lo, exec_lo, s47
	s_add_co_i32 s45, s45, 1
	s_delay_alu instid0(SALU_CYCLE_1)
	s_cmp_ge_u32 s45, s18
	s_cbranch_scc1 .LBB18_35
; %bb.39:                               ;   in Loop: Header=BB18_36 Depth=2
	v_lshl_add_u32 v28, s46, 2, v30
	v_dual_mov_b32 v29, v23 :: v_dual_mov_b32 v48, v26
	s_mov_b32 s46, s45
	s_branch .LBB18_41
.LBB18_40:                              ;   in Loop: Header=BB18_41 Depth=3
	s_or_b32 exec_lo, exec_lo, s47
	v_dual_add_nc_u32 v48, 4, v48 :: v_dual_add_nc_u32 v29, s20, v29
	s_add_co_i32 s46, s46, 1
	s_delay_alu instid0(SALU_CYCLE_1)
	s_cmp_eq_u32 s18, s46
	s_cbranch_scc1 .LBB18_35
.LBB18_41:                              ;   Parent Loop BB18_4 Depth=1
                                        ;     Parent Loop BB18_36 Depth=2
                                        ; =>    This Inner Loop Header: Depth=3
	s_mov_b32 s47, exec_lo
	v_cmpx_eq_u32_e64 s46, v4
	s_cbranch_execz .LBB18_43
; %bb.42:                               ;   in Loop: Header=BB18_41 Depth=3
	ds_load_b32 v49, v31
	s_wait_dscnt 0x0
	v_mul_f32_e64 v49, -v27, v49
	ds_store_b32 v28, v49
.LBB18_43:                              ;   in Loop: Header=BB18_41 Depth=3
	s_or_b32 exec_lo, exec_lo, s47
	s_delay_alu instid0(SALU_CYCLE_1)
	s_mov_b32 s47, exec_lo
	v_cmpx_lt_i32_e64 s46, v4
	s_cbranch_execz .LBB18_40
; %bb.44:                               ;   in Loop: Header=BB18_41 Depth=3
	ds_load_b32 v49, v29
	ds_load_b32 v50, v48
	s_wait_dscnt 0x0
	v_fmac_f32_e32 v27, v49, v50
	s_branch .LBB18_40
.LBB18_45:                              ;   in Loop: Header=BB18_4 Depth=1
	s_or_b32 exec_lo, exec_lo, s44
	s_delay_alu instid0(SALU_CYCLE_1)
	s_and_b32 vcc_lo, exec_lo, s41
	s_mov_b32 s44, -1
	s_wait_dscnt 0x0
	s_barrier_signal -1
	s_barrier_wait -1
	s_cbranch_vccz .LBB18_51
; %bb.46:                               ;   in Loop: Header=BB18_4 Depth=1
	s_and_saveexec_b32 s44, s1
	s_cbranch_execz .LBB18_50
; %bb.47:                               ;   in Loop: Header=BB18_4 Depth=1
	v_dual_mov_b32 v23, 0 :: v_dual_mov_b32 v26, v32
	v_mov_b32_e32 v27, v38
	s_mov_b32 s46, -1
	s_mov_b32 s45, 0
.LBB18_48:                              ;   Parent Loop BB18_4 Depth=1
                                        ; =>  This Inner Loop Header: Depth=2
	ds_load_b32 v28, v26
	ds_load_b32 v29, v27
	s_add_co_i32 s46, s46, 1
	v_dual_add_nc_u32 v27, -4, v27 :: v_dual_add_nc_u32 v26, 64, v26
	v_cmp_ge_u32_e32 vcc_lo, s46, v0
	s_or_b32 s45, vcc_lo, s45
	s_wait_dscnt 0x0
	v_fmac_f32_e32 v23, v28, v29
	s_and_not1_b32 exec_lo, exec_lo, s45
	s_cbranch_execnz .LBB18_48
; %bb.49:                               ;   in Loop: Header=BB18_4 Depth=1
	s_or_b32 exec_lo, exec_lo, s45
	v_add_nc_u32_e32 v26, v1, v33
	ds_store_b32 v26, v23
.LBB18_50:                              ;   in Loop: Header=BB18_4 Depth=1
	s_or_b32 exec_lo, exec_lo, s44
	s_mov_b32 s44, 0
.LBB18_51:                              ;   in Loop: Header=BB18_4 Depth=1
	s_delay_alu instid0(SALU_CYCLE_1)
	s_and_not1_b32 vcc_lo, exec_lo, s44
	s_cbranch_vccnz .LBB18_59
; %bb.52:                               ;   in Loop: Header=BB18_4 Depth=1
	s_and_saveexec_b32 s44, s1
	s_cbranch_execz .LBB18_58
; %bb.53:                               ;   in Loop: Header=BB18_4 Depth=1
	v_mov_b32_e32 v23, 0
	s_and_saveexec_b32 s45, s6
	s_cbranch_execz .LBB18_57
; %bb.54:                               ;   in Loop: Header=BB18_4 Depth=1
	v_dual_mov_b32 v23, 0 :: v_dual_mov_b32 v26, v41
	v_dual_mov_b32 v27, v40 :: v_dual_mov_b32 v28, v39
	s_mov_b32 s46, 0
.LBB18_55:                              ;   Parent Loop BB18_4 Depth=1
                                        ; =>  This Inner Loop Header: Depth=2
	ds_load_b32 v29, v26
	ds_load_b32 v48, v27
	v_dual_add_nc_u32 v28, 1, v28 :: v_dual_add_nc_u32 v27, 4, v27
	v_add_nc_u32_e32 v26, 64, v26
	s_delay_alu instid0(VALU_DEP_2)
	v_cmp_lt_u32_e32 vcc_lo, 14, v28
	s_or_b32 s46, vcc_lo, s46
	s_wait_dscnt 0x0
	v_fmac_f32_e32 v23, v29, v48
	s_and_not1_b32 exec_lo, exec_lo, s46
	s_cbranch_execnz .LBB18_55
; %bb.56:                               ;   in Loop: Header=BB18_4 Depth=1
	s_or_b32 exec_lo, exec_lo, s46
.LBB18_57:                              ;   in Loop: Header=BB18_4 Depth=1
	s_delay_alu instid0(SALU_CYCLE_1)
	s_or_b32 exec_lo, exec_lo, s45
	v_add_nc_u32_e32 v26, v1, v33
	ds_store_b32 v26, v23
.LBB18_58:                              ;   in Loop: Header=BB18_4 Depth=1
	s_or_b32 exec_lo, exec_lo, s44
.LBB18_59:                              ;   in Loop: Header=BB18_4 Depth=1
	v_add_nc_u64_e32 v[26:27], s[16:17], v[24:25]
	s_and_b32 vcc_lo, exec_lo, s41
	s_mov_b32 s44, -1
	s_wait_dscnt 0x0
	s_barrier_signal -1
	s_barrier_wait -1
	s_delay_alu instid0(VALU_DEP_1) | instskip(NEXT) | instid1(VALU_DEP_1)
	v_add_nc_u64_e32 v[26:27], s[34:35], v[26:27]
	v_add_nc_u64_e32 v[26:27], s[30:31], v[26:27]
	s_cbranch_vccnz .LBB18_62
; %bb.60:                               ;   in Loop: Header=BB18_4 Depth=1
	s_and_not1_b32 vcc_lo, exec_lo, s44
	s_cbranch_vccz .LBB18_67
.LBB18_61:                              ;   in Loop: Header=BB18_4 Depth=1
	s_and_saveexec_b32 s44, s2
	s_cbranch_execz .LBB18_2
	s_branch .LBB18_72
.LBB18_62:                              ;   in Loop: Header=BB18_4 Depth=1
	s_and_saveexec_b32 s44, s1
	s_cbranch_execz .LBB18_66
; %bb.63:                               ;   in Loop: Header=BB18_4 Depth=1
	v_dual_mov_b32 v28, 0 :: v_dual_mov_b32 v23, v44
	v_dual_mov_b32 v29, v43 :: v_dual_mov_b32 v48, v42
	s_mov_b32 s45, 0
.LBB18_64:                              ;   Parent Loop BB18_4 Depth=1
                                        ; =>  This Inner Loop Header: Depth=2
	ds_load_b32 v49, v23
	ds_load_b32 v50, v29
	v_dual_add_nc_u32 v48, 1, v48 :: v_dual_add_nc_u32 v29, 4, v29
	v_add_nc_u32_e32 v23, s21, v23
	s_delay_alu instid0(VALU_DEP_2)
	v_cmp_lt_u32_e32 vcc_lo, 14, v48
	s_or_b32 s45, vcc_lo, s45
	s_wait_dscnt 0x0
	v_fma_f32 v28, -v49, v50, v28
	s_and_not1_b32 exec_lo, exec_lo, s45
	s_cbranch_execnz .LBB18_64
; %bb.65:                               ;   in Loop: Header=BB18_4 Depth=1
	s_or_b32 exec_lo, exec_lo, s45
	s_lshl_b64 s[46:47], s[12:13], 2
	v_mov_b32_e32 v23, v3
	v_add_nc_u64_e32 v[48:49], s[46:47], v[26:27]
	s_delay_alu instid0(VALU_DEP_1) | instskip(NEXT) | instid1(VALU_DEP_1)
	v_add_nc_u64_e32 v[48:49], v[48:49], v[22:23]
	v_lshl_add_u64 v[48:49], v[12:13], 2, v[48:49]
	flat_store_b32 v[48:49], v28
.LBB18_66:                              ;   in Loop: Header=BB18_4 Depth=1
	s_wait_xcnt 0x0
	s_or_b32 exec_lo, exec_lo, s44
	s_cbranch_execnz .LBB18_61
.LBB18_67:                              ;   in Loop: Header=BB18_4 Depth=1
	s_and_saveexec_b32 s44, s1
	s_cbranch_execz .LBB18_71
; %bb.68:                               ;   in Loop: Header=BB18_4 Depth=1
	v_dual_mov_b32 v23, 0 :: v_dual_mov_b32 v28, v46
	v_mov_b32_e32 v29, v45
	s_mov_b32 s46, -1
	s_mov_b32 s45, 0
.LBB18_69:                              ;   Parent Loop BB18_4 Depth=1
                                        ; =>  This Inner Loop Header: Depth=2
	ds_load_b32 v48, v28
	ds_load_b32 v49, v29
	s_add_co_i32 s46, s46, 1
	v_dual_add_nc_u32 v29, 4, v29 :: v_dual_add_nc_u32 v28, s20, v28
	v_cmp_ge_u32_e32 vcc_lo, s46, v10
	s_or_b32 s45, vcc_lo, s45
	s_wait_dscnt 0x0
	v_fma_f32 v23, -v48, v49, v23
	s_and_not1_b32 exec_lo, exec_lo, s45
	s_cbranch_execnz .LBB18_69
; %bb.70:                               ;   in Loop: Header=BB18_4 Depth=1
	s_or_b32 exec_lo, exec_lo, s45
	v_lshl_add_u64 v[28:29], v[12:13], 2, v[26:27]
	s_delay_alu instid0(VALU_DEP_1)
	v_add_nc_u64_e32 v[28:29], v[28:29], v[2:3]
	flat_store_b32 v[28:29], v23
.LBB18_71:                              ;   in Loop: Header=BB18_4 Depth=1
	s_wait_xcnt 0x0
	s_or_b32 exec_lo, exec_lo, s44
	s_and_saveexec_b32 s44, s2
	s_cbranch_execz .LBB18_2
.LBB18_72:                              ;   in Loop: Header=BB18_4 Depth=1
	s_and_b32 vcc_lo, exec_lo, s41
	s_mov_b32 s45, -1
	s_cbranch_vccz .LBB18_77
; %bb.73:                               ;   in Loop: Header=BB18_4 Depth=1
	s_and_saveexec_b32 s45, s4
	s_cbranch_execz .LBB18_76
; %bb.74:                               ;   in Loop: Header=BB18_4 Depth=1
	v_add_nc_u64_e32 v[24:25], v[24:25], v[20:21]
	v_mov_b32_e32 v23, v35
	s_mov_b32 s46, 0
	s_mov_b32 s47, s18
.LBB18_75:                              ;   Parent Loop BB18_4 Depth=1
                                        ; =>  This Inner Loop Header: Depth=2
	ds_load_b32 v28, v23
	s_add_co_i32 s47, s47, -1
	v_add_nc_u32_e32 v23, s20, v23
	v_cmp_le_i32_e32 vcc_lo, s47, v4
	s_or_b32 s46, vcc_lo, s46
	s_wait_dscnt 0x0
	flat_store_b32 v[24:25], v28
	s_wait_xcnt 0x0
	v_add_nc_u64_e32 v[24:25], s[38:39], v[24:25]
	s_and_not1_b32 exec_lo, exec_lo, s46
	s_cbranch_execnz .LBB18_75
.LBB18_76:                              ;   in Loop: Header=BB18_4 Depth=1
	s_or_b32 exec_lo, exec_lo, s45
	s_mov_b32 s45, 0
.LBB18_77:                              ;   in Loop: Header=BB18_4 Depth=1
	s_delay_alu instid0(SALU_CYCLE_1)
	s_and_not1_b32 vcc_lo, exec_lo, s45
	s_cbranch_vccnz .LBB18_2
; %bb.78:                               ;   in Loop: Header=BB18_4 Depth=1
	s_and_b32 exec_lo, exec_lo, s5
	s_cbranch_execz .LBB18_2
; %bb.79:                               ;   in Loop: Header=BB18_4 Depth=1
	v_lshl_add_u64 v[24:25], v[6:7], 2, v[26:27]
	v_dual_mov_b32 v23, v30 :: v_dual_mov_b32 v26, v47
	s_mov_b32 s45, 0
	s_delay_alu instid0(VALU_DEP_2)
	v_lshl_add_u64 v[24:25], v[4:5], 2, v[24:25]
.LBB18_80:                              ;   Parent Loop BB18_4 Depth=1
                                        ; =>  This Inner Loop Header: Depth=2
	ds_load_b32 v27, v23
	v_dual_add_nc_u32 v26, -1, v26 :: v_dual_add_nc_u32 v23, s20, v23
	s_delay_alu instid0(VALU_DEP_1)
	v_cmp_eq_u32_e32 vcc_lo, 0, v26
	s_or_b32 s45, vcc_lo, s45
	s_wait_dscnt 0x0
	flat_store_b32 v[24:25], v27
	s_wait_xcnt 0x0
	v_add_nc_u64_e32 v[24:25], s[36:37], v[24:25]
	s_and_not1_b32 exec_lo, exec_lo, s45
	s_cbranch_execnz .LBB18_80
	s_branch .LBB18_2
.LBB18_81:
	s_endpgm
	.section	.rodata,"a",@progbits
	.p2align	6, 0x0
	.amdhsa_kernel _ZL29rocblas_trtri_diagonal_kernelILi16EfPKPKfPKPfEv13rocblas_fill_17rocblas_diagonal_iT1_lillT2_lilli
		.amdhsa_group_segment_fixed_size 4096
		.amdhsa_private_segment_fixed_size 0
		.amdhsa_kernarg_size 100
		.amdhsa_user_sgpr_count 2
		.amdhsa_user_sgpr_dispatch_ptr 0
		.amdhsa_user_sgpr_queue_ptr 0
		.amdhsa_user_sgpr_kernarg_segment_ptr 1
		.amdhsa_user_sgpr_dispatch_id 0
		.amdhsa_user_sgpr_kernarg_preload_length 0
		.amdhsa_user_sgpr_kernarg_preload_offset 0
		.amdhsa_user_sgpr_private_segment_size 0
		.amdhsa_wavefront_size32 1
		.amdhsa_uses_dynamic_stack 0
		.amdhsa_enable_private_segment 0
		.amdhsa_system_sgpr_workgroup_id_x 1
		.amdhsa_system_sgpr_workgroup_id_y 0
		.amdhsa_system_sgpr_workgroup_id_z 1
		.amdhsa_system_sgpr_workgroup_info 0
		.amdhsa_system_vgpr_workitem_id 0
		.amdhsa_next_free_vgpr 51
		.amdhsa_next_free_sgpr 50
		.amdhsa_named_barrier_count 0
		.amdhsa_reserve_vcc 1
		.amdhsa_float_round_mode_32 0
		.amdhsa_float_round_mode_16_64 0
		.amdhsa_float_denorm_mode_32 3
		.amdhsa_float_denorm_mode_16_64 3
		.amdhsa_fp16_overflow 0
		.amdhsa_memory_ordered 1
		.amdhsa_forward_progress 1
		.amdhsa_inst_pref_size 24
		.amdhsa_round_robin_scheduling 0
		.amdhsa_exception_fp_ieee_invalid_op 0
		.amdhsa_exception_fp_denorm_src 0
		.amdhsa_exception_fp_ieee_div_zero 0
		.amdhsa_exception_fp_ieee_overflow 0
		.amdhsa_exception_fp_ieee_underflow 0
		.amdhsa_exception_fp_ieee_inexact 0
		.amdhsa_exception_int_div_zero 0
	.end_amdhsa_kernel
	.section	.text._ZL29rocblas_trtri_diagonal_kernelILi16EfPKPKfPKPfEv13rocblas_fill_17rocblas_diagonal_iT1_lillT2_lilli,"axG",@progbits,_ZL29rocblas_trtri_diagonal_kernelILi16EfPKPKfPKPfEv13rocblas_fill_17rocblas_diagonal_iT1_lillT2_lilli,comdat
.Lfunc_end18:
	.size	_ZL29rocblas_trtri_diagonal_kernelILi16EfPKPKfPKPfEv13rocblas_fill_17rocblas_diagonal_iT1_lillT2_lilli, .Lfunc_end18-_ZL29rocblas_trtri_diagonal_kernelILi16EfPKPKfPKPfEv13rocblas_fill_17rocblas_diagonal_iT1_lillT2_lilli
                                        ; -- End function
	.set _ZL29rocblas_trtri_diagonal_kernelILi16EfPKPKfPKPfEv13rocblas_fill_17rocblas_diagonal_iT1_lillT2_lilli.num_vgpr, 51
	.set _ZL29rocblas_trtri_diagonal_kernelILi16EfPKPKfPKPfEv13rocblas_fill_17rocblas_diagonal_iT1_lillT2_lilli.num_agpr, 0
	.set _ZL29rocblas_trtri_diagonal_kernelILi16EfPKPKfPKPfEv13rocblas_fill_17rocblas_diagonal_iT1_lillT2_lilli.numbered_sgpr, 50
	.set _ZL29rocblas_trtri_diagonal_kernelILi16EfPKPKfPKPfEv13rocblas_fill_17rocblas_diagonal_iT1_lillT2_lilli.num_named_barrier, 0
	.set _ZL29rocblas_trtri_diagonal_kernelILi16EfPKPKfPKPfEv13rocblas_fill_17rocblas_diagonal_iT1_lillT2_lilli.private_seg_size, 0
	.set _ZL29rocblas_trtri_diagonal_kernelILi16EfPKPKfPKPfEv13rocblas_fill_17rocblas_diagonal_iT1_lillT2_lilli.uses_vcc, 1
	.set _ZL29rocblas_trtri_diagonal_kernelILi16EfPKPKfPKPfEv13rocblas_fill_17rocblas_diagonal_iT1_lillT2_lilli.uses_flat_scratch, 0
	.set _ZL29rocblas_trtri_diagonal_kernelILi16EfPKPKfPKPfEv13rocblas_fill_17rocblas_diagonal_iT1_lillT2_lilli.has_dyn_sized_stack, 0
	.set _ZL29rocblas_trtri_diagonal_kernelILi16EfPKPKfPKPfEv13rocblas_fill_17rocblas_diagonal_iT1_lillT2_lilli.has_recursion, 0
	.set _ZL29rocblas_trtri_diagonal_kernelILi16EfPKPKfPKPfEv13rocblas_fill_17rocblas_diagonal_iT1_lillT2_lilli.has_indirect_call, 0
	.section	.AMDGPU.csdata,"",@progbits
; Kernel info:
; codeLenInByte = 2952
; TotalNumSgprs: 52
; NumVgprs: 51
; ScratchSize: 0
; MemoryBound: 0
; FloatMode: 240
; IeeeMode: 1
; LDSByteSize: 4096 bytes/workgroup (compile time only)
; SGPRBlocks: 0
; VGPRBlocks: 3
; NumSGPRsForWavesPerEU: 52
; NumVGPRsForWavesPerEU: 51
; NamedBarCnt: 0
; Occupancy: 16
; WaveLimiterHint : 1
; COMPUTE_PGM_RSRC2:SCRATCH_EN: 0
; COMPUTE_PGM_RSRC2:USER_SGPR: 2
; COMPUTE_PGM_RSRC2:TRAP_HANDLER: 0
; COMPUTE_PGM_RSRC2:TGID_X_EN: 1
; COMPUTE_PGM_RSRC2:TGID_Y_EN: 0
; COMPUTE_PGM_RSRC2:TGID_Z_EN: 1
; COMPUTE_PGM_RSRC2:TIDIG_COMP_CNT: 0
	.section	.text._ZL30rocblas_trtri_remainder_kernelILi16EfPKPKfPKPfEv13rocblas_fill_17rocblas_diagonal_iT1_lillT2_lilli,"axG",@progbits,_ZL30rocblas_trtri_remainder_kernelILi16EfPKPKfPKPfEv13rocblas_fill_17rocblas_diagonal_iT1_lillT2_lilli,comdat
	.globl	_ZL30rocblas_trtri_remainder_kernelILi16EfPKPKfPKPfEv13rocblas_fill_17rocblas_diagonal_iT1_lillT2_lilli ; -- Begin function _ZL30rocblas_trtri_remainder_kernelILi16EfPKPKfPKPfEv13rocblas_fill_17rocblas_diagonal_iT1_lillT2_lilli
	.p2align	8
	.type	_ZL30rocblas_trtri_remainder_kernelILi16EfPKPKfPKPfEv13rocblas_fill_17rocblas_diagonal_iT1_lillT2_lilli,@function
_ZL30rocblas_trtri_remainder_kernelILi16EfPKPKfPKPfEv13rocblas_fill_17rocblas_diagonal_iT1_lillT2_lilli: ; @_ZL30rocblas_trtri_remainder_kernelILi16EfPKPKfPKPfEv13rocblas_fill_17rocblas_diagonal_iT1_lillT2_lilli
; %bb.0:
	s_load_b32 s15, s[0:1], 0x60
	s_bfe_u32 s2, ttmp6, 0x40014
	s_lshr_b32 s3, ttmp7, 16
	s_add_co_i32 s2, s2, 1
	s_bfe_u32 s4, ttmp6, 0x40008
	s_mul_i32 s2, s3, s2
	s_getreg_b32 s19, hwreg(HW_REG_IB_STS2, 6, 4)
	s_add_co_i32 s4, s4, s2
	s_cmp_eq_u32 s19, 0
	s_cselect_b32 s2, s3, s4
	s_mov_b32 s3, 0
	s_wait_kmcnt 0x0
	s_cmp_ge_u32 s2, s15
	s_cbranch_scc1 .LBB19_38
; %bb.1:
	s_clause 0x5
	s_load_b32 s20, s[0:1], 0x20
	s_load_b96 s[16:18], s[0:1], 0x40
	s_load_b96 s[12:14], s[0:1], 0x0
	s_load_b128 s[4:7], s[0:1], 0x30
	s_load_b128 s[8:11], s[0:1], 0x10
	s_load_b64 s[22:23], s[0:1], 0x58
	s_wait_xcnt 0x0
	s_bfe_u32 s1, ttmp6, 0x4000c
	s_and_b32 s0, ttmp6, 15
	s_add_co_i32 s1, s1, 1
	s_mov_b32 s25, s3
	s_mul_i32 s1, ttmp9, s1
	s_mov_b32 s31, s3
	s_add_co_i32 s1, s0, s1
	v_dual_add_nc_u32 v17, 1, v0 :: v_dual_lshlrev_b32 v4, 2, v0
	s_wait_kmcnt 0x0
	s_ashr_i32 s21, s20, 31
	s_ashr_i32 s35, s18, 31
	s_cmp_eq_u32 s19, 0
	s_mov_b32 s34, s18
	s_cselect_b32 s24, ttmp9, s1
	s_cmp_gt_i32 s14, 0
	s_mul_u64 s[4:5], s[4:5], s[24:25]
	s_cselect_b32 s1, -1, 0
	s_cmp_lg_u32 s12, 0x7a
	v_mul_lo_u32 v2, v0, s14
	s_cselect_b32 s26, -1, 0
	s_add_co_i32 s30, s14, -1
	s_delay_alu instid0(SALU_CYCLE_1)
	v_dual_mov_b32 v3, 0 :: v_dual_sub_nc_u32 v1, s30, v0
	s_cmp_lg_u32 s13, 0x84
	s_mul_u64 s[12:13], s[20:21], s[30:31]
	s_cselect_b32 s27, -1, 0
	s_lshl_b64 s[4:5], s[4:5], 2
	s_lshl_b64 s[12:13], s[12:13], 2
	v_dual_lshlrev_b32 v1, 2, v1 :: v_dual_mov_b32 v5, v3
	s_add_nc_u64 s[12:13], s[4:5], s[12:13]
	s_lshl_b64 s[10:11], s[10:11], 2
	s_mul_u64 s[18:19], s[22:23], s[24:25]
	s_add_nc_u64 s[12:13], s[12:13], s[10:11]
	s_lshl_b64 s[18:19], s[18:19], 2
	v_add_nc_u64_e32 v[6:7], s[12:13], v[4:5]
	s_lshl_b64 s[12:13], s[20:21], 2
	s_mul_u64 s[20:21], s[34:35], s[30:31]
	s_lshl_b64 s[16:17], s[16:17], 2
	s_lshl_b64 s[22:23], s[20:21], 2
	s_lshl_b32 s28, s14, 2
	s_add_nc_u64 s[22:23], s[18:19], s[22:23]
	v_cmp_gt_u32_e64 s0, s14, v0
	s_add_nc_u64 s[22:23], s[22:23], s[16:17]
	v_add_lshl_u32 v16, v2, v0, 2
	v_add_nc_u64_e32 v[8:9], s[22:23], v[4:5]
	v_add_nc_u32_e32 v18, s28, v4
	v_lshlrev_b32_e32 v2, 2, v0
	s_lshl_b64 s[22:23], s[34:35], 2
	s_sub_nc_u64 s[20:21], 0, s[12:13]
	s_add_co_i32 s29, s28, 4
	s_sub_nc_u64 s[24:25], 0, s[22:23]
	s_branch .LBB19_4
.LBB19_2:                               ;   in Loop: Header=BB19_4 Depth=1
	s_or_b32 exec_lo, exec_lo, s30
.LBB19_3:                               ;   in Loop: Header=BB19_4 Depth=1
	s_add_co_i32 s2, s2, 0x10000
	s_delay_alu instid0(SALU_CYCLE_1)
	s_cmp_lt_u32 s2, s15
	s_cbranch_scc0 .LBB19_38
.LBB19_4:                               ; =>This Loop Header: Depth=1
                                        ;     Child Loop BB19_8 Depth 2
                                        ;     Child Loop BB19_12 Depth 2
	;; [unrolled: 1-line block ×3, first 2 shown]
                                        ;       Child Loop BB19_26 Depth 3
                                        ;     Child Loop BB19_33 Depth 2
                                        ;     Child Loop BB19_37 Depth 2
	s_and_not1_b32 vcc_lo, exec_lo, s1
	s_cbranch_vccnz .LBB19_3
; %bb.5:                                ;   in Loop: Header=BB19_4 Depth=1
	v_mov_b32_e32 v5, s2
	global_load_b64 v[10:11], v5, s[6:7] scale_offset
	s_wait_xcnt 0x0
	s_and_saveexec_b32 s30, s0
	s_cbranch_execz .LBB19_13
; %bb.6:                                ;   in Loop: Header=BB19_4 Depth=1
	s_lshl_b64 s[34:35], s[2:3], 3
	s_and_not1_b32 vcc_lo, exec_lo, s26
	s_add_nc_u64 s[34:35], s[8:9], s[34:35]
	s_mov_b32 s31, -1
	global_load_b64 v[12:13], v3, s[34:35]
	s_cbranch_vccnz .LBB19_10
; %bb.7:                                ;   in Loop: Header=BB19_4 Depth=1
	s_wait_loadcnt 0x0
	v_add_nc_u64_e32 v[14:15], v[12:13], v[6:7]
	v_mov_b32_e32 v5, v1
	s_mov_b32 s31, 0
	s_mov_b32 s33, s14
.LBB19_8:                               ;   Parent Loop BB19_4 Depth=1
                                        ; =>  This Inner Loop Header: Depth=2
	flat_load_b32 v19, v[14:15]
	s_add_co_i32 s33, s33, -1
	s_wait_xcnt 0x0
	v_add_nc_u64_e32 v[14:15], s[20:21], v[14:15]
	v_cmp_le_u32_e32 vcc_lo, s33, v0
	s_or_b32 s31, vcc_lo, s31
	s_wait_loadcnt_dscnt 0x0
	ds_store_b32 v5, v19
	v_add_nc_u32_e32 v5, s28, v5
	s_and_not1_b32 exec_lo, exec_lo, s31
	s_cbranch_execnz .LBB19_8
; %bb.9:                                ;   in Loop: Header=BB19_4 Depth=1
	s_or_b32 exec_lo, exec_lo, s31
	s_mov_b32 s31, 0
.LBB19_10:                              ;   in Loop: Header=BB19_4 Depth=1
	s_delay_alu instid0(SALU_CYCLE_1)
	s_and_b32 vcc_lo, exec_lo, s31
	s_cbranch_vccz .LBB19_13
; %bb.11:                               ;   in Loop: Header=BB19_4 Depth=1
	s_wait_loadcnt 0x0
	v_add_nc_u64_e32 v[12:13], s[10:11], v[12:13]
	v_dual_mov_b32 v5, v4 :: v_dual_mov_b32 v14, v17
	s_mov_b32 s31, 0
	s_delay_alu instid0(VALU_DEP_2) | instskip(NEXT) | instid1(VALU_DEP_1)
	v_add_nc_u64_e32 v[12:13], s[4:5], v[12:13]
	v_add_nc_u64_e32 v[12:13], v[12:13], v[2:3]
.LBB19_12:                              ;   Parent Loop BB19_4 Depth=1
                                        ; =>  This Inner Loop Header: Depth=2
	flat_load_b32 v15, v[12:13]
	v_add_nc_u32_e32 v14, -1, v14
	s_wait_xcnt 0x0
	v_add_nc_u64_e32 v[12:13], s[12:13], v[12:13]
	s_wait_loadcnt_dscnt 0x0
	ds_store_b32 v5, v15
	v_add_nc_u32_e32 v5, s28, v5
	v_cmp_eq_u32_e32 vcc_lo, 0, v14
	s_or_b32 s31, vcc_lo, s31
	s_delay_alu instid0(SALU_CYCLE_1)
	s_and_not1_b32 exec_lo, exec_lo, s31
	s_cbranch_execnz .LBB19_12
.LBB19_13:                              ;   in Loop: Header=BB19_4 Depth=1
	s_wait_xcnt 0x0
	s_or_b32 exec_lo, exec_lo, s30
	s_wait_loadcnt_dscnt 0x0
	s_barrier_signal -1
	s_barrier_wait -1
	s_and_saveexec_b32 s30, s0
	s_cbranch_execz .LBB19_19
; %bb.14:                               ;   in Loop: Header=BB19_4 Depth=1
	v_mov_b32_e32 v12, 1.0
	s_and_not1_b32 vcc_lo, exec_lo, s27
	s_cbranch_vccnz .LBB19_18
; %bb.15:                               ;   in Loop: Header=BB19_4 Depth=1
	ds_load_b32 v5, v16
	v_mov_b32_e32 v12, 1.0
	s_mov_b32 s31, exec_lo
	s_wait_dscnt 0x0
	v_cmpx_neq_f32_e32 0, v5
	s_cbranch_execz .LBB19_17
; %bb.16:                               ;   in Loop: Header=BB19_4 Depth=1
	v_div_scale_f32 v12, null, v5, v5, 1.0
	s_delay_alu instid0(VALU_DEP_1) | instskip(SKIP_1) | instid1(TRANS32_DEP_1)
	v_rcp_f32_e32 v13, v12
	v_nop
	v_fma_f32 v14, -v12, v13, 1.0
	s_delay_alu instid0(VALU_DEP_1) | instskip(SKIP_1) | instid1(VALU_DEP_1)
	v_fmac_f32_e32 v13, v14, v13
	v_div_scale_f32 v14, vcc_lo, 1.0, v5, 1.0
	v_mul_f32_e32 v15, v14, v13
	s_delay_alu instid0(VALU_DEP_1) | instskip(NEXT) | instid1(VALU_DEP_1)
	v_fma_f32 v19, -v12, v15, v14
	v_fmac_f32_e32 v15, v19, v13
	s_delay_alu instid0(VALU_DEP_1) | instskip(NEXT) | instid1(VALU_DEP_1)
	v_fma_f32 v12, -v12, v15, v14
	v_div_fmas_f32 v12, v12, v13, v15
	s_delay_alu instid0(VALU_DEP_1)
	v_div_fixup_f32 v12, v12, v5, 1.0
.LBB19_17:                              ;   in Loop: Header=BB19_4 Depth=1
	s_or_b32 exec_lo, exec_lo, s31
.LBB19_18:                              ;   in Loop: Header=BB19_4 Depth=1
	ds_store_b32 v16, v12
.LBB19_19:                              ;   in Loop: Header=BB19_4 Depth=1
	s_or_b32 exec_lo, exec_lo, s30
	v_mov_b32_e32 v5, v18
	s_mov_b32 s30, 0
	s_mov_b32 s31, 4
	s_wait_dscnt 0x0
	s_barrier_signal -1
	s_barrier_wait -1
	s_branch .LBB19_21
.LBB19_20:                              ;   in Loop: Header=BB19_21 Depth=2
	v_add_nc_u32_e32 v5, s28, v5
	s_add_co_i32 s31, s31, s29
	s_cmp_eq_u32 s30, s14
	s_barrier_signal -1
	s_barrier_wait -1
	s_cbranch_scc1 .LBB19_30
.LBB19_21:                              ;   Parent Loop BB19_4 Depth=1
                                        ; =>  This Loop Header: Depth=2
                                        ;       Child Loop BB19_26 Depth 3
	v_mov_b32_e32 v12, 0
	s_mul_i32 s33, s30, s14
	s_mov_b32 s34, exec_lo
	v_cmpx_lt_u32_e64 s30, v0
	s_cbranch_execz .LBB19_23
; %bb.22:                               ;   in Loop: Header=BB19_21 Depth=2
	s_lshl_b32 s35, s30, 2
	s_lshl_b32 s36, s33, 2
	s_delay_alu instid0(SALU_CYCLE_1) | instskip(NEXT) | instid1(SALU_CYCLE_1)
	s_add_co_i32 s35, s35, s36
	v_dual_mov_b32 v13, s35 :: v_dual_add_nc_u32 v12, s36, v4
	ds_load_b32 v12, v12
	ds_load_b32 v13, v13
	s_wait_dscnt 0x0
	v_fma_f32 v12, v12, v13, 0
.LBB19_23:                              ;   in Loop: Header=BB19_21 Depth=2
	s_or_b32 exec_lo, exec_lo, s34
	s_add_co_i32 s30, s30, 1
	s_delay_alu instid0(SALU_CYCLE_1)
	s_cmp_ge_i32 s30, s14
	s_barrier_signal -1
	s_barrier_wait -1
	s_cbranch_scc1 .LBB19_20
; %bb.24:                               ;   in Loop: Header=BB19_21 Depth=2
	v_lshl_add_u32 v13, s33, 2, v4
	v_mov_b32_e32 v14, v5
	s_mov_b32 s33, s31
	s_mov_b32 s34, s30
	s_branch .LBB19_26
.LBB19_25:                              ;   in Loop: Header=BB19_26 Depth=3
	s_or_b32 exec_lo, exec_lo, s35
	v_add_nc_u32_e32 v14, s28, v14
	s_add_co_i32 s34, s34, 1
	s_add_co_i32 s33, s33, 4
	s_cmp_eq_u32 s14, s34
	s_barrier_signal -1
	s_barrier_wait -1
	s_cbranch_scc1 .LBB19_20
.LBB19_26:                              ;   Parent Loop BB19_4 Depth=1
                                        ;     Parent Loop BB19_21 Depth=2
                                        ; =>    This Inner Loop Header: Depth=3
	s_mov_b32 s35, exec_lo
	v_cmpx_eq_u32_e64 s34, v0
	s_cbranch_execz .LBB19_28
; %bb.27:                               ;   in Loop: Header=BB19_26 Depth=3
	ds_load_b32 v15, v16
	s_wait_dscnt 0x0
	v_mul_f32_e64 v15, -v12, v15
	ds_store_b32 v13, v15
.LBB19_28:                              ;   in Loop: Header=BB19_26 Depth=3
	s_or_b32 exec_lo, exec_lo, s35
	s_delay_alu instid0(SALU_CYCLE_1)
	s_mov_b32 s35, exec_lo
	s_wait_dscnt 0x0
	s_barrier_signal -1
	s_barrier_wait -1
	v_cmpx_lt_u32_e64 s34, v0
	s_cbranch_execz .LBB19_25
; %bb.29:                               ;   in Loop: Header=BB19_26 Depth=3
	v_mov_b32_e32 v15, s33
	ds_load_b32 v19, v14
	ds_load_b32 v15, v15
	s_wait_dscnt 0x0
	v_fmac_f32_e32 v12, v19, v15
	s_branch .LBB19_25
.LBB19_30:                              ;   in Loop: Header=BB19_4 Depth=1
	s_and_saveexec_b32 s30, s0
	s_cbranch_execz .LBB19_2
; %bb.31:                               ;   in Loop: Header=BB19_4 Depth=1
	s_and_not1_b32 vcc_lo, exec_lo, s26
	s_mov_b32 s31, -1
	s_cbranch_vccnz .LBB19_35
; %bb.32:                               ;   in Loop: Header=BB19_4 Depth=1
	v_add_nc_u64_e32 v[12:13], v[10:11], v[8:9]
	v_mov_b32_e32 v5, v1
	s_mov_b32 s31, 0
	s_mov_b32 s33, s14
.LBB19_33:                              ;   Parent Loop BB19_4 Depth=1
                                        ; =>  This Inner Loop Header: Depth=2
	ds_load_b32 v14, v5
	s_add_co_i32 s33, s33, -1
	v_add_nc_u32_e32 v5, s28, v5
	v_cmp_le_u32_e32 vcc_lo, s33, v0
	s_or_b32 s31, vcc_lo, s31
	s_wait_dscnt 0x0
	flat_store_b32 v[12:13], v14
	s_wait_xcnt 0x0
	v_add_nc_u64_e32 v[12:13], s[24:25], v[12:13]
	s_and_not1_b32 exec_lo, exec_lo, s31
	s_cbranch_execnz .LBB19_33
; %bb.34:                               ;   in Loop: Header=BB19_4 Depth=1
	s_or_b32 exec_lo, exec_lo, s31
	s_mov_b32 s31, 0
.LBB19_35:                              ;   in Loop: Header=BB19_4 Depth=1
	s_delay_alu instid0(SALU_CYCLE_1)
	s_and_b32 vcc_lo, exec_lo, s31
	s_cbranch_vccz .LBB19_2
; %bb.36:                               ;   in Loop: Header=BB19_4 Depth=1
	v_add_nc_u64_e32 v[10:11], s[16:17], v[10:11]
	v_dual_mov_b32 v5, v4 :: v_dual_mov_b32 v12, v17
	s_mov_b32 s31, 0
	s_delay_alu instid0(VALU_DEP_2) | instskip(NEXT) | instid1(VALU_DEP_1)
	v_add_nc_u64_e32 v[10:11], s[18:19], v[10:11]
	v_add_nc_u64_e32 v[10:11], v[10:11], v[2:3]
.LBB19_37:                              ;   Parent Loop BB19_4 Depth=1
                                        ; =>  This Inner Loop Header: Depth=2
	ds_load_b32 v13, v5
	v_dual_add_nc_u32 v12, -1, v12 :: v_dual_add_nc_u32 v5, s28, v5
	s_delay_alu instid0(VALU_DEP_1)
	v_cmp_eq_u32_e32 vcc_lo, 0, v12
	s_or_b32 s31, vcc_lo, s31
	s_wait_dscnt 0x0
	flat_store_b32 v[10:11], v13
	s_wait_xcnt 0x0
	v_add_nc_u64_e32 v[10:11], s[22:23], v[10:11]
	s_and_not1_b32 exec_lo, exec_lo, s31
	s_cbranch_execnz .LBB19_37
	s_branch .LBB19_2
.LBB19_38:
	s_endpgm
	.section	.rodata,"a",@progbits
	.p2align	6, 0x0
	.amdhsa_kernel _ZL30rocblas_trtri_remainder_kernelILi16EfPKPKfPKPfEv13rocblas_fill_17rocblas_diagonal_iT1_lillT2_lilli
		.amdhsa_group_segment_fixed_size 4096
		.amdhsa_private_segment_fixed_size 0
		.amdhsa_kernarg_size 100
		.amdhsa_user_sgpr_count 2
		.amdhsa_user_sgpr_dispatch_ptr 0
		.amdhsa_user_sgpr_queue_ptr 0
		.amdhsa_user_sgpr_kernarg_segment_ptr 1
		.amdhsa_user_sgpr_dispatch_id 0
		.amdhsa_user_sgpr_kernarg_preload_length 0
		.amdhsa_user_sgpr_kernarg_preload_offset 0
		.amdhsa_user_sgpr_private_segment_size 0
		.amdhsa_wavefront_size32 1
		.amdhsa_uses_dynamic_stack 0
		.amdhsa_enable_private_segment 0
		.amdhsa_system_sgpr_workgroup_id_x 1
		.amdhsa_system_sgpr_workgroup_id_y 0
		.amdhsa_system_sgpr_workgroup_id_z 1
		.amdhsa_system_sgpr_workgroup_info 0
		.amdhsa_system_vgpr_workitem_id 0
		.amdhsa_next_free_vgpr 20
		.amdhsa_next_free_sgpr 37
		.amdhsa_named_barrier_count 0
		.amdhsa_reserve_vcc 1
		.amdhsa_float_round_mode_32 0
		.amdhsa_float_round_mode_16_64 0
		.amdhsa_float_denorm_mode_32 3
		.amdhsa_float_denorm_mode_16_64 3
		.amdhsa_fp16_overflow 0
		.amdhsa_memory_ordered 1
		.amdhsa_forward_progress 1
		.amdhsa_inst_pref_size 11
		.amdhsa_round_robin_scheduling 0
		.amdhsa_exception_fp_ieee_invalid_op 0
		.amdhsa_exception_fp_denorm_src 0
		.amdhsa_exception_fp_ieee_div_zero 0
		.amdhsa_exception_fp_ieee_overflow 0
		.amdhsa_exception_fp_ieee_underflow 0
		.amdhsa_exception_fp_ieee_inexact 0
		.amdhsa_exception_int_div_zero 0
	.end_amdhsa_kernel
	.section	.text._ZL30rocblas_trtri_remainder_kernelILi16EfPKPKfPKPfEv13rocblas_fill_17rocblas_diagonal_iT1_lillT2_lilli,"axG",@progbits,_ZL30rocblas_trtri_remainder_kernelILi16EfPKPKfPKPfEv13rocblas_fill_17rocblas_diagonal_iT1_lillT2_lilli,comdat
.Lfunc_end19:
	.size	_ZL30rocblas_trtri_remainder_kernelILi16EfPKPKfPKPfEv13rocblas_fill_17rocblas_diagonal_iT1_lillT2_lilli, .Lfunc_end19-_ZL30rocblas_trtri_remainder_kernelILi16EfPKPKfPKPfEv13rocblas_fill_17rocblas_diagonal_iT1_lillT2_lilli
                                        ; -- End function
	.set _ZL30rocblas_trtri_remainder_kernelILi16EfPKPKfPKPfEv13rocblas_fill_17rocblas_diagonal_iT1_lillT2_lilli.num_vgpr, 20
	.set _ZL30rocblas_trtri_remainder_kernelILi16EfPKPKfPKPfEv13rocblas_fill_17rocblas_diagonal_iT1_lillT2_lilli.num_agpr, 0
	.set _ZL30rocblas_trtri_remainder_kernelILi16EfPKPKfPKPfEv13rocblas_fill_17rocblas_diagonal_iT1_lillT2_lilli.numbered_sgpr, 37
	.set _ZL30rocblas_trtri_remainder_kernelILi16EfPKPKfPKPfEv13rocblas_fill_17rocblas_diagonal_iT1_lillT2_lilli.num_named_barrier, 0
	.set _ZL30rocblas_trtri_remainder_kernelILi16EfPKPKfPKPfEv13rocblas_fill_17rocblas_diagonal_iT1_lillT2_lilli.private_seg_size, 0
	.set _ZL30rocblas_trtri_remainder_kernelILi16EfPKPKfPKPfEv13rocblas_fill_17rocblas_diagonal_iT1_lillT2_lilli.uses_vcc, 1
	.set _ZL30rocblas_trtri_remainder_kernelILi16EfPKPKfPKPfEv13rocblas_fill_17rocblas_diagonal_iT1_lillT2_lilli.uses_flat_scratch, 0
	.set _ZL30rocblas_trtri_remainder_kernelILi16EfPKPKfPKPfEv13rocblas_fill_17rocblas_diagonal_iT1_lillT2_lilli.has_dyn_sized_stack, 0
	.set _ZL30rocblas_trtri_remainder_kernelILi16EfPKPKfPKPfEv13rocblas_fill_17rocblas_diagonal_iT1_lillT2_lilli.has_recursion, 0
	.set _ZL30rocblas_trtri_remainder_kernelILi16EfPKPKfPKPfEv13rocblas_fill_17rocblas_diagonal_iT1_lillT2_lilli.has_indirect_call, 0
	.section	.AMDGPU.csdata,"",@progbits
; Kernel info:
; codeLenInByte = 1376
; TotalNumSgprs: 39
; NumVgprs: 20
; ScratchSize: 0
; MemoryBound: 0
; FloatMode: 240
; IeeeMode: 1
; LDSByteSize: 4096 bytes/workgroup (compile time only)
; SGPRBlocks: 0
; VGPRBlocks: 1
; NumSGPRsForWavesPerEU: 39
; NumVGPRsForWavesPerEU: 20
; NamedBarCnt: 0
; Occupancy: 16
; WaveLimiterHint : 0
; COMPUTE_PGM_RSRC2:SCRATCH_EN: 0
; COMPUTE_PGM_RSRC2:USER_SGPR: 2
; COMPUTE_PGM_RSRC2:TRAP_HANDLER: 0
; COMPUTE_PGM_RSRC2:TGID_X_EN: 1
; COMPUTE_PGM_RSRC2:TGID_Y_EN: 0
; COMPUTE_PGM_RSRC2:TGID_Z_EN: 1
; COMPUTE_PGM_RSRC2:TIDIG_COMP_CNT: 0
	.section	.text._ZL18rocblas_trtri_fillILi128EdPKPdEvP15_rocblas_handle13rocblas_fill_ililT1_llii,"axG",@progbits,_ZL18rocblas_trtri_fillILi128EdPKPdEvP15_rocblas_handle13rocblas_fill_ililT1_llii,comdat
	.globl	_ZL18rocblas_trtri_fillILi128EdPKPdEvP15_rocblas_handle13rocblas_fill_ililT1_llii ; -- Begin function _ZL18rocblas_trtri_fillILi128EdPKPdEvP15_rocblas_handle13rocblas_fill_ililT1_llii
	.p2align	8
	.type	_ZL18rocblas_trtri_fillILi128EdPKPdEvP15_rocblas_handle13rocblas_fill_ililT1_llii,@function
_ZL18rocblas_trtri_fillILi128EdPKPdEvP15_rocblas_handle13rocblas_fill_ililT1_llii: ; @_ZL18rocblas_trtri_fillILi128EdPKPdEvP15_rocblas_handle13rocblas_fill_ililT1_llii
; %bb.0:
	s_load_b64 s[2:3], s[0:1], 0x40
	s_bfe_u32 s4, ttmp6, 0x40014
	s_lshr_b32 s5, ttmp7, 16
	s_add_co_i32 s4, s4, 1
	s_bfe_u32 s6, ttmp6, 0x40008
	s_mul_i32 s4, s5, s4
	s_getreg_b32 s12, hwreg(HW_REG_IB_STS2, 6, 4)
	s_add_co_i32 s6, s6, s4
	s_cmp_eq_u32 s12, 0
	s_mov_b32 s13, 0
	s_cselect_b32 s33, s5, s6
	s_wait_kmcnt 0x0
	s_cmp_ge_u32 s33, s3
	s_cbranch_scc1 .LBB20_17
; %bb.1:
	s_clause 0x3
	s_load_b32 s14, s[0:1], 0x18
	s_load_b128 s[4:7], s[0:1], 0x8
	s_load_b128 s[8:11], s[0:1], 0x20
	s_load_b64 s[30:31], s[0:1], 0x30
	s_ashr_i32 s17, s2, 31
	s_mov_b32 s16, s2
	s_bfe_u32 s2, ttmp6, 0x4000c
	s_and_b32 s18, ttmp6, 15
	s_add_co_i32 s2, s2, 1
	s_add_nc_u64 s[24:25], s[0:1], 0x48
	s_mul_i32 s2, ttmp9, s2
	v_mov_b64_e32 v[6:7], 0
	s_add_co_i32 s18, s18, s2
	s_mov_b64 s[26:27], 0xffffffff
	s_wait_kmcnt 0x0
	s_ashr_i32 s15, s14, 31
	v_cvt_f32_u32_e32 v1, s6
	s_cmp_eq_u32 s12, 0
	s_cvt_f32_u32 s2, s6
	s_cvt_f32_u32 s19, s7
	s_cselect_b32 s12, ttmp9, s18
	v_rcp_iflag_f32_e32 v1, v1
	s_add_co_i32 s18, s5, -2
	s_fmamk_f32 s2, s19, 0x4f800000, s2
	v_cvt_f64_i32_e32 v[2:3], s18
	s_lshl_b64 s[18:19], s[12:13], 7
	s_sub_co_i32 s12, 0, s6
	v_s_rcp_f32 s2, s2
	v_mul_f32_e32 v1, 0x4f7ffffe, v1
	v_or_b32_e32 v0, s18, v0
	s_mov_b32 s18, s5
	s_add_co_i32 s20, s5, -1
	s_mul_u64 s[16:17], s[6:7], s[16:17]
	v_cvt_u32_f32_e32 v5, v1
	v_mov_b32_e32 v1, s19
	s_ashr_i32 s19, s5, 31
	s_mul_f32 s5, s2, 0x5f7ffffc
	s_ashr_i32 s21, s20, 31
	v_mul_lo_u32 v4, s12, v5
	v_cmp_gt_u64_e64 s2, s[16:17], v[0:1]
	s_mul_f32 s12, s5, 0x2f800000
	s_mul_u64 s[22:23], s[20:21], s[18:19]
	s_lshl_b64 s[30:31], s[30:31], 3
	s_lshl_b64 s[20:21], s[22:23], 2
	s_trunc_f32 s12, s12
	s_add_nc_u64 s[20:21], s[20:21], -7
	s_lshr_b64 s[22:23], s[22:23], 1
	s_sub_nc_u64 s[34:35], 0, s[6:7]
	s_fmamk_f32 s0, s12, 0xcf800000, s5
	v_mul_hi_u32 v8, v5, v4
	v_mov_b32_e32 v4, 0
	s_cvt_u32_f32 s29, s12
	s_cvt_u32_f32 s28, s0
	s_delay_alu instid0(VALU_DEP_2)
	v_add_nc_u32_e32 v14, v5, v8
	s_branch .LBB20_3
.LBB20_2:                               ;   in Loop: Header=BB20_3 Depth=1
	s_or_b32 exec_lo, exec_lo, s1
	s_add_co_i32 s33, s33, 0x10000
	s_delay_alu instid0(SALU_CYCLE_1)
	s_cmp_lt_u32 s33, s3
	s_cbranch_scc0 .LBB20_17
.LBB20_3:                               ; =>This Loop Header: Depth=1
                                        ;     Child Loop BB20_6 Depth 2
	s_and_saveexec_b32 s1, s2
	s_cbranch_execz .LBB20_2
; %bb.4:                                ;   in Loop: Header=BB20_3 Depth=1
	s_load_b32 s0, s[24:25], 0xc
	s_load_b64 s[36:37], s[10:11], s33 offset:0x0 scale_offset
	s_load_b32 s12, s[24:25], 0x0
	v_mov_b64_e32 v[8:9], v[0:1]
	s_mov_b32 s39, s13
	s_mov_b32 s5, 0
	s_wait_kmcnt 0x0
	s_and_b32 s38, s0, 0xffff
	s_add_nc_u64 s[36:37], s[36:37], s[30:31]
	s_mul_u64 s[38:39], s[38:39], s[12:13]
	s_branch .LBB20_6
.LBB20_5:                               ;   in Loop: Header=BB20_6 Depth=2
	v_add_nc_u64_e32 v[8:9], s[38:39], v[8:9]
	s_delay_alu instid0(VALU_DEP_1)
	v_cmp_le_u64_e32 vcc_lo, s[16:17], v[8:9]
	s_or_b32 s5, vcc_lo, s5
	s_wait_xcnt 0x0
	s_and_not1_b32 exec_lo, exec_lo, s5
	s_cbranch_execz .LBB20_2
.LBB20_6:                               ;   Parent Loop BB20_3 Depth=1
                                        ; =>  This Inner Loop Header: Depth=2
	v_or_b32_e32 v5, s7, v9
                                        ; implicit-def: $vgpr10_vgpr11
	s_mov_b32 s0, exec_lo
	s_delay_alu instid0(VALU_DEP_1)
	v_cmpx_ne_u64_e32 0, v[4:5]
	s_xor_b32 s40, exec_lo, s0
	s_cbranch_execz .LBB20_8
; %bb.7:                                ;   in Loop: Header=BB20_6 Depth=2
	s_mul_u64 s[42:43], s[34:35], s[28:29]
	v_dual_mov_b32 v10, v8 :: v_dual_mov_b32 v11, v4
	s_mul_hi_u32 s45, s28, s43
	s_mul_i32 s44, s28, s43
	s_mul_hi_u32 s12, s28, s42
	s_mul_hi_u32 s0, s29, s42
	s_add_nc_u64 s[44:45], s[12:13], s[44:45]
	s_mul_i32 s12, s29, s42
	s_mul_hi_u32 s41, s29, s43
	s_add_co_u32 s12, s44, s12
	s_add_co_ci_u32 s12, s45, s0
	s_add_co_ci_u32 s45, s41, 0
	s_mul_i32 s44, s29, s43
	v_dual_mov_b32 v12, v9 :: v_dual_mov_b32 v13, v4
	s_add_nc_u64 s[42:43], s[12:13], s[44:45]
	v_mov_b32_e32 v19, v4
	s_add_co_u32 s42, s28, s42
	s_cselect_b32 s0, -1, 0
	s_delay_alu instid0(SALU_CYCLE_1) | instskip(SKIP_1) | instid1(SALU_CYCLE_1)
	s_cmp_lg_u32 s0, 0
	s_add_co_ci_u32 s43, s29, s43
	s_mul_u64 s[44:45], s[34:35], s[42:43]
	s_delay_alu instid0(SALU_CYCLE_1)
	s_mul_hi_u32 s47, s42, s45
	s_mul_i32 s46, s42, s45
	s_mul_hi_u32 s12, s42, s44
	s_mul_i32 s41, s43, s44
	s_add_nc_u64 s[46:47], s[12:13], s[46:47]
	s_mul_hi_u32 s0, s43, s44
	s_mul_hi_u32 s48, s43, s45
	s_add_co_u32 s12, s46, s41
	s_add_co_ci_u32 s12, s47, s0
	s_mul_i32 s44, s43, s45
	s_add_co_ci_u32 s45, s48, 0
	s_delay_alu instid0(SALU_CYCLE_1) | instskip(NEXT) | instid1(SALU_CYCLE_1)
	s_add_nc_u64 s[44:45], s[12:13], s[44:45]
	s_add_co_u32 s0, s42, s44
	s_cselect_b32 s12, -1, 0
	v_mul_hi_u32 v18, v8, s0
	s_cmp_lg_u32 s12, 0
	s_add_co_ci_u32 s12, s43, s45
	s_and_b64 s[42:43], s[0:1], s[26:27]
	v_mul_u64_e32 v[10:11], s[12:13], v[10:11]
	v_mul_u64_e32 v[16:17], s[42:43], v[12:13]
	;; [unrolled: 1-line block ×3, first 2 shown]
	s_delay_alu instid0(VALU_DEP_3) | instskip(NEXT) | instid1(VALU_DEP_1)
	v_add_nc_u64_e32 v[10:11], v[18:19], v[10:11]
	v_add_co_u32 v5, vcc_lo, v10, v16
	s_delay_alu instid0(VALU_DEP_2) | instskip(NEXT) | instid1(VALU_DEP_4)
	v_add_co_ci_u32_e32 v18, vcc_lo, v11, v17, vcc_lo
	v_add_co_ci_u32_e32 v13, vcc_lo, 0, v13, vcc_lo
	s_delay_alu instid0(VALU_DEP_1) | instskip(NEXT) | instid1(VALU_DEP_1)
	v_add_nc_u64_e32 v[10:11], v[18:19], v[12:13]
	v_mul_u64_e32 v[12:13], s[6:7], v[10:11]
	v_add_nc_u64_e32 v[16:17], 2, v[10:11]
	s_delay_alu instid0(VALU_DEP_2) | instskip(NEXT) | instid1(VALU_DEP_3)
	v_sub_nc_u32_e32 v5, v9, v13
	v_sub_co_u32 v12, vcc_lo, v8, v12
	s_delay_alu instid0(VALU_DEP_1) | instskip(NEXT) | instid1(VALU_DEP_3)
	v_sub_co_ci_u32_e64 v19, null, v9, v13, vcc_lo
	v_subrev_co_ci_u32_e64 v5, null, s7, v5, vcc_lo
	s_delay_alu instid0(VALU_DEP_3) | instskip(SKIP_1) | instid1(VALU_DEP_3)
	v_sub_co_u32 v15, s0, v12, s6
	v_cmp_le_u32_e32 vcc_lo, s6, v12
	v_subrev_co_ci_u32_e64 v5, null, 0, v5, s0
	s_delay_alu instid0(VALU_DEP_3) | instskip(SKIP_2) | instid1(VALU_DEP_4)
	v_cmp_le_u32_e64 s0, s6, v15
	v_add_nc_u64_e32 v[12:13], 1, v[10:11]
	v_cndmask_b32_e64 v20, 0, -1, vcc_lo
	v_cmp_eq_u32_e32 vcc_lo, s7, v5
	s_delay_alu instid0(VALU_DEP_4) | instskip(SKIP_1) | instid1(VALU_DEP_1)
	v_cndmask_b32_e64 v15, 0, -1, s0
	v_cmp_le_u32_e64 s0, s7, v5
	v_cndmask_b32_e64 v18, 0, -1, s0
	v_cmp_eq_u32_e64 s0, s7, v19
	s_delay_alu instid0(VALU_DEP_2) | instskip(SKIP_2) | instid1(VALU_DEP_3)
	v_cndmask_b32_e32 v5, v18, v15, vcc_lo
	v_cmp_le_u32_e32 vcc_lo, s7, v19
	v_cndmask_b32_e64 v15, 0, -1, vcc_lo
	v_cmp_ne_u32_e32 vcc_lo, 0, v5
	s_delay_alu instid0(VALU_DEP_2) | instskip(SKIP_1) | instid1(VALU_DEP_2)
	v_dual_cndmask_b32 v5, v15, v20, s0 :: v_dual_cndmask_b32 v13, v13, v17, vcc_lo
	v_cndmask_b32_e32 v12, v12, v16, vcc_lo
	v_cmp_ne_u32_e32 vcc_lo, 0, v5
	s_delay_alu instid0(VALU_DEP_2)
	v_dual_cndmask_b32 v11, v11, v13 :: v_dual_cndmask_b32 v10, v10, v12
.LBB20_8:                               ;   in Loop: Header=BB20_6 Depth=2
	s_and_not1_saveexec_b32 s0, s40
	s_cbranch_execz .LBB20_10
; %bb.9:                                ;   in Loop: Header=BB20_6 Depth=2
	v_mul_hi_u32 v5, v8, v14
	s_delay_alu instid0(VALU_DEP_1) | instskip(NEXT) | instid1(VALU_DEP_1)
	v_mul_lo_u32 v10, v5, s6
	v_dual_add_nc_u32 v11, 1, v5 :: v_dual_sub_nc_u32 v10, v8, v10
	s_delay_alu instid0(VALU_DEP_1) | instskip(SKIP_1) | instid1(VALU_DEP_2)
	v_subrev_nc_u32_e32 v12, s6, v10
	v_cmp_le_u32_e32 vcc_lo, s6, v10
	v_dual_cndmask_b32 v10, v10, v12 :: v_dual_cndmask_b32 v5, v5, v11
	s_delay_alu instid0(VALU_DEP_1) | instskip(NEXT) | instid1(VALU_DEP_2)
	v_cmp_le_u32_e32 vcc_lo, s6, v10
	v_add_nc_u32_e32 v11, 1, v5
	s_delay_alu instid0(VALU_DEP_1)
	v_dual_cndmask_b32 v10, v5, v11 :: v_dual_mov_b32 v11, v4
.LBB20_10:                              ;   in Loop: Header=BB20_6 Depth=2
	s_or_b32 exec_lo, exec_lo, s0
	s_delay_alu instid0(VALU_DEP_1) | instskip(SKIP_2) | instid1(VALU_DEP_1)
	v_mul_u64_e32 v[12:13], s[6:7], v[10:11]
	s_cmp_lt_i32 s4, 0x7a
	s_mov_b32 s0, -1
	v_sub_nc_u64_e32 v[12:13], v[8:9], v[12:13]
	s_cbranch_scc1 .LBB20_14
; %bb.11:                               ;   in Loop: Header=BB20_6 Depth=2
	s_cmp_eq_u32 s4, 0x7a
	s_cbranch_scc0 .LBB20_13
; %bb.12:                               ;   in Loop: Header=BB20_6 Depth=2
	s_delay_alu instid0(VALU_DEP_1) | instskip(NEXT) | instid1(VALU_DEP_1)
	v_lshlrev_b64_e32 v[16:17], 3, v[12:13]
	v_sub_nc_u64_e32 v[16:17], s[20:21], v[16:17]
	s_delay_alu instid0(VALU_DEP_1) | instskip(NEXT) | instid1(VALU_DEP_2)
	v_cvt_f64_u32_e32 v[18:19], v17
	v_cvt_f64_u32_e32 v[16:17], v16
	s_delay_alu instid0(VALU_DEP_2) | instskip(NEXT) | instid1(VALU_DEP_1)
	v_ldexp_f64 v[18:19], v[18:19], 32
	v_add_f64_e32 v[16:17], v[18:19], v[16:17]
	s_delay_alu instid0(VALU_DEP_1) | instskip(SKIP_1) | instid1(VALU_DEP_1)
	v_cmp_gt_f64_e32 vcc_lo, 0x10000000, v[16:17]
	v_cndmask_b32_e64 v5, 0, 0x100, vcc_lo
	v_ldexp_f64 v[16:17], v[16:17], v5
	v_cndmask_b32_e64 v5, 0, 0xffffff80, vcc_lo
	s_delay_alu instid0(VALU_DEP_2) | instskip(SKIP_1) | instid1(TRANS32_DEP_1)
	v_rsq_f64_e32 v[18:19], v[16:17]
	v_cmp_class_f64_e64 vcc_lo, v[16:17], 0x260
	v_mul_f64_e32 v[20:21], v[16:17], v[18:19]
	v_mul_f64_e32 v[18:19], 0.5, v[18:19]
	s_delay_alu instid0(VALU_DEP_1) | instskip(NEXT) | instid1(VALU_DEP_1)
	v_fma_f64 v[22:23], -v[18:19], v[20:21], 0.5
	v_fmac_f64_e32 v[20:21], v[20:21], v[22:23]
	v_fmac_f64_e32 v[18:19], v[18:19], v[22:23]
	s_delay_alu instid0(VALU_DEP_2) | instskip(NEXT) | instid1(VALU_DEP_1)
	v_fma_f64 v[22:23], -v[20:21], v[20:21], v[16:17]
	v_fmac_f64_e32 v[20:21], v[22:23], v[18:19]
	s_delay_alu instid0(VALU_DEP_1) | instskip(NEXT) | instid1(VALU_DEP_1)
	v_fma_f64 v[22:23], -v[20:21], v[20:21], v[16:17]
	v_fmac_f64_e32 v[20:21], v[22:23], v[18:19]
	s_delay_alu instid0(VALU_DEP_1) | instskip(SKIP_1) | instid1(VALU_DEP_2)
	v_ldexp_f64 v[18:19], v[20:21], v5
	v_mul_u64_e32 v[20:21], s[8:9], v[10:11]
	v_dual_cndmask_b32 v17, v19, v17 :: v_dual_cndmask_b32 v16, v18, v16
	s_delay_alu instid0(VALU_DEP_2) | instskip(NEXT) | instid1(VALU_DEP_2)
	v_lshl_add_u64 v[20:21], v[20:21], 3, s[36:37]
	v_fma_f64 v[16:17], v[16:17], 0.5, -0.5
	s_delay_alu instid0(VALU_DEP_1) | instskip(NEXT) | instid1(VALU_DEP_1)
	v_floor_f64_e32 v[16:17], v[16:17]
	v_add_f64_e64 v[16:17], v[2:3], -v[16:17]
	s_delay_alu instid0(VALU_DEP_1) | instskip(NEXT) | instid1(VALU_DEP_1)
	v_trunc_f64_e32 v[16:17], v[16:17]
	v_ldexp_f64 v[18:19], v[16:17], 0xffffffe0
	s_delay_alu instid0(VALU_DEP_1) | instskip(NEXT) | instid1(VALU_DEP_1)
	v_floor_f64_e32 v[18:19], v[18:19]
	v_fmac_f64_e32 v[16:17], 0xc1f00000, v[18:19]
	s_delay_alu instid0(VALU_DEP_1) | instskip(SKIP_1) | instid1(VALU_DEP_1)
	v_cvt_u32_f64_e32 v16, v[16:17]
	v_cvt_u32_f64_e32 v17, v[18:19]
	v_sub_nc_u64_e32 v[18:19], s[18:19], v[16:17]
	v_mul_u64_e32 v[24:25], s[14:15], v[16:17]
	s_delay_alu instid0(VALU_DEP_2) | instskip(NEXT) | instid1(VALU_DEP_1)
	v_add_nc_u64_e32 v[22:23], -1, v[18:19]
	v_mul_u64_e32 v[18:19], v[22:23], v[18:19]
	v_sub_nc_u64_e64 v[22:23], v[12:13], s[22:23]
	s_delay_alu instid0(VALU_DEP_4) | instskip(NEXT) | instid1(VALU_DEP_1)
	v_lshl_add_u64 v[20:21], v[24:25], 3, v[20:21]
	v_lshl_add_u64 v[20:21], v[22:23], 3, v[20:21]
	s_delay_alu instid0(VALU_DEP_1) | instskip(SKIP_1) | instid1(VALU_DEP_1)
	v_lshl_add_u64 v[16:17], v[16:17], 3, v[20:21]
	v_lshlrev_b64_e32 v[18:19], 2, v[18:19]
	v_and_b32_e32 v18, -8, v18
	s_delay_alu instid0(VALU_DEP_1)
	v_add_nc_u64_e32 v[16:17], v[16:17], v[18:19]
	flat_store_b64 v[16:17], v[6:7] offset:8
.LBB20_13:                              ;   in Loop: Header=BB20_6 Depth=2
	s_mov_b32 s0, 0
.LBB20_14:                              ;   in Loop: Header=BB20_6 Depth=2
	s_delay_alu instid0(SALU_CYCLE_1)
	s_and_not1_b32 vcc_lo, exec_lo, s0
	s_cbranch_vccnz .LBB20_5
; %bb.15:                               ;   in Loop: Header=BB20_6 Depth=2
	s_cmp_lg_u32 s4, 0x79
	s_cbranch_scc1 .LBB20_5
; %bb.16:                               ;   in Loop: Header=BB20_6 Depth=2
	s_wait_xcnt 0x0
	v_lshlrev_b64_e32 v[16:17], 3, v[12:13]
	v_mul_u64_e32 v[10:11], s[8:9], v[10:11]
	s_delay_alu instid0(VALU_DEP_2) | instskip(NEXT) | instid1(VALU_DEP_3)
	v_cvt_f64_u32_e32 v[18:19], v17
	v_or_b32_e32 v5, 1, v16
	s_delay_alu instid0(VALU_DEP_1) | instskip(NEXT) | instid1(VALU_DEP_4)
	v_cvt_f64_u32_e32 v[16:17], v5
	v_lshl_add_u64 v[10:11], v[10:11], 3, s[36:37]
	s_delay_alu instid0(VALU_DEP_4) | instskip(NEXT) | instid1(VALU_DEP_1)
	v_ldexp_f64 v[18:19], v[18:19], 32
	v_add_f64_e32 v[16:17], v[18:19], v[16:17]
	s_delay_alu instid0(VALU_DEP_1) | instskip(SKIP_1) | instid1(VALU_DEP_1)
	v_cmp_gt_f64_e32 vcc_lo, 0x10000000, v[16:17]
	v_cndmask_b32_e64 v5, 0, 0x100, vcc_lo
	v_ldexp_f64 v[16:17], v[16:17], v5
	v_cndmask_b32_e64 v5, 0, 0xffffff80, vcc_lo
	s_delay_alu instid0(VALU_DEP_2) | instskip(SKIP_1) | instid1(TRANS32_DEP_1)
	v_rsq_f64_e32 v[18:19], v[16:17]
	v_cmp_class_f64_e64 vcc_lo, v[16:17], 0x260
	v_mul_f64_e32 v[20:21], v[16:17], v[18:19]
	v_mul_f64_e32 v[18:19], 0.5, v[18:19]
	s_delay_alu instid0(VALU_DEP_1) | instskip(NEXT) | instid1(VALU_DEP_1)
	v_fma_f64 v[22:23], -v[18:19], v[20:21], 0.5
	v_fmac_f64_e32 v[20:21], v[20:21], v[22:23]
	v_fmac_f64_e32 v[18:19], v[18:19], v[22:23]
	s_delay_alu instid0(VALU_DEP_2) | instskip(NEXT) | instid1(VALU_DEP_1)
	v_fma_f64 v[22:23], -v[20:21], v[20:21], v[16:17]
	v_fmac_f64_e32 v[20:21], v[22:23], v[18:19]
	s_delay_alu instid0(VALU_DEP_1) | instskip(NEXT) | instid1(VALU_DEP_1)
	v_fma_f64 v[22:23], -v[20:21], v[20:21], v[16:17]
	v_fmac_f64_e32 v[20:21], v[22:23], v[18:19]
	s_delay_alu instid0(VALU_DEP_1) | instskip(NEXT) | instid1(VALU_DEP_1)
	v_ldexp_f64 v[18:19], v[20:21], v5
	v_dual_cndmask_b32 v17, v19, v17 :: v_dual_cndmask_b32 v16, v18, v16
	s_delay_alu instid0(VALU_DEP_1) | instskip(NEXT) | instid1(VALU_DEP_1)
	v_add_f64_e32 v[16:17], -1.0, v[16:17]
	v_mul_f64_e32 v[16:17], 0.5, v[16:17]
	s_delay_alu instid0(VALU_DEP_1) | instskip(NEXT) | instid1(VALU_DEP_1)
	v_trunc_f64_e32 v[16:17], v[16:17]
	v_ldexp_f64 v[18:19], v[16:17], 0xffffffe0
	s_delay_alu instid0(VALU_DEP_1) | instskip(NEXT) | instid1(VALU_DEP_1)
	v_floor_f64_e32 v[18:19], v[18:19]
	v_fmac_f64_e32 v[16:17], 0xc1f00000, v[18:19]
	s_delay_alu instid0(VALU_DEP_1) | instskip(SKIP_1) | instid1(VALU_DEP_2)
	v_cvt_u32_f64_e32 v16, v[16:17]
	v_cvt_u32_f64_e32 v17, v[18:19]
	v_mad_nc_u64_u32 v[18:19], s14, v16, s[14:15]
	s_delay_alu instid0(VALU_DEP_2) | instskip(SKIP_1) | instid1(VALU_DEP_3)
	v_mad_nc_u64_u32 v[20:21], v16, v16, v[16:17]
	v_mul_lo_u32 v5, v16, v17
	v_mad_u32 v15, s15, v16, v19
	s_delay_alu instid0(VALU_DEP_2) | instskip(NEXT) | instid1(VALU_DEP_2)
	v_add3_u32 v21, v5, v21, v5
	v_mad_u32 v19, s14, v17, v15
	s_delay_alu instid0(VALU_DEP_2) | instskip(NEXT) | instid1(VALU_DEP_1)
	v_lshrrev_b64 v[16:17], 1, v[20:21]
	v_sub_nc_u64_e32 v[12:13], v[12:13], v[16:17]
	s_delay_alu instid0(VALU_DEP_3) | instskip(NEXT) | instid1(VALU_DEP_1)
	v_lshl_add_u64 v[10:11], v[18:19], 3, v[10:11]
	v_lshl_add_u64 v[10:11], v[12:13], 3, v[10:11]
	flat_store_b64 v[10:11], v[6:7]
	s_branch .LBB20_5
.LBB20_17:
	s_endpgm
	.section	.rodata,"a",@progbits
	.p2align	6, 0x0
	.amdhsa_kernel _ZL18rocblas_trtri_fillILi128EdPKPdEvP15_rocblas_handle13rocblas_fill_ililT1_llii
		.amdhsa_group_segment_fixed_size 0
		.amdhsa_private_segment_fixed_size 0
		.amdhsa_kernarg_size 328
		.amdhsa_user_sgpr_count 2
		.amdhsa_user_sgpr_dispatch_ptr 0
		.amdhsa_user_sgpr_queue_ptr 0
		.amdhsa_user_sgpr_kernarg_segment_ptr 1
		.amdhsa_user_sgpr_dispatch_id 0
		.amdhsa_user_sgpr_kernarg_preload_length 0
		.amdhsa_user_sgpr_kernarg_preload_offset 0
		.amdhsa_user_sgpr_private_segment_size 0
		.amdhsa_wavefront_size32 1
		.amdhsa_uses_dynamic_stack 0
		.amdhsa_enable_private_segment 0
		.amdhsa_system_sgpr_workgroup_id_x 1
		.amdhsa_system_sgpr_workgroup_id_y 0
		.amdhsa_system_sgpr_workgroup_id_z 1
		.amdhsa_system_sgpr_workgroup_info 0
		.amdhsa_system_vgpr_workitem_id 0
		.amdhsa_next_free_vgpr 26
		.amdhsa_next_free_sgpr 49
		.amdhsa_named_barrier_count 0
		.amdhsa_reserve_vcc 1
		.amdhsa_float_round_mode_32 0
		.amdhsa_float_round_mode_16_64 0
		.amdhsa_float_denorm_mode_32 3
		.amdhsa_float_denorm_mode_16_64 3
		.amdhsa_fp16_overflow 0
		.amdhsa_memory_ordered 1
		.amdhsa_forward_progress 1
		.amdhsa_inst_pref_size 15
		.amdhsa_round_robin_scheduling 0
		.amdhsa_exception_fp_ieee_invalid_op 0
		.amdhsa_exception_fp_denorm_src 0
		.amdhsa_exception_fp_ieee_div_zero 0
		.amdhsa_exception_fp_ieee_overflow 0
		.amdhsa_exception_fp_ieee_underflow 0
		.amdhsa_exception_fp_ieee_inexact 0
		.amdhsa_exception_int_div_zero 0
	.end_amdhsa_kernel
	.section	.text._ZL18rocblas_trtri_fillILi128EdPKPdEvP15_rocblas_handle13rocblas_fill_ililT1_llii,"axG",@progbits,_ZL18rocblas_trtri_fillILi128EdPKPdEvP15_rocblas_handle13rocblas_fill_ililT1_llii,comdat
.Lfunc_end20:
	.size	_ZL18rocblas_trtri_fillILi128EdPKPdEvP15_rocblas_handle13rocblas_fill_ililT1_llii, .Lfunc_end20-_ZL18rocblas_trtri_fillILi128EdPKPdEvP15_rocblas_handle13rocblas_fill_ililT1_llii
                                        ; -- End function
	.set _ZL18rocblas_trtri_fillILi128EdPKPdEvP15_rocblas_handle13rocblas_fill_ililT1_llii.num_vgpr, 26
	.set _ZL18rocblas_trtri_fillILi128EdPKPdEvP15_rocblas_handle13rocblas_fill_ililT1_llii.num_agpr, 0
	.set _ZL18rocblas_trtri_fillILi128EdPKPdEvP15_rocblas_handle13rocblas_fill_ililT1_llii.numbered_sgpr, 49
	.set _ZL18rocblas_trtri_fillILi128EdPKPdEvP15_rocblas_handle13rocblas_fill_ililT1_llii.num_named_barrier, 0
	.set _ZL18rocblas_trtri_fillILi128EdPKPdEvP15_rocblas_handle13rocblas_fill_ililT1_llii.private_seg_size, 0
	.set _ZL18rocblas_trtri_fillILi128EdPKPdEvP15_rocblas_handle13rocblas_fill_ililT1_llii.uses_vcc, 1
	.set _ZL18rocblas_trtri_fillILi128EdPKPdEvP15_rocblas_handle13rocblas_fill_ililT1_llii.uses_flat_scratch, 0
	.set _ZL18rocblas_trtri_fillILi128EdPKPdEvP15_rocblas_handle13rocblas_fill_ililT1_llii.has_dyn_sized_stack, 0
	.set _ZL18rocblas_trtri_fillILi128EdPKPdEvP15_rocblas_handle13rocblas_fill_ililT1_llii.has_recursion, 0
	.set _ZL18rocblas_trtri_fillILi128EdPKPdEvP15_rocblas_handle13rocblas_fill_ililT1_llii.has_indirect_call, 0
	.section	.AMDGPU.csdata,"",@progbits
; Kernel info:
; codeLenInByte = 1812
; TotalNumSgprs: 51
; NumVgprs: 26
; ScratchSize: 0
; MemoryBound: 0
; FloatMode: 240
; IeeeMode: 1
; LDSByteSize: 0 bytes/workgroup (compile time only)
; SGPRBlocks: 0
; VGPRBlocks: 1
; NumSGPRsForWavesPerEU: 51
; NumVGPRsForWavesPerEU: 26
; NamedBarCnt: 0
; Occupancy: 16
; WaveLimiterHint : 1
; COMPUTE_PGM_RSRC2:SCRATCH_EN: 0
; COMPUTE_PGM_RSRC2:USER_SGPR: 2
; COMPUTE_PGM_RSRC2:TRAP_HANDLER: 0
; COMPUTE_PGM_RSRC2:TGID_X_EN: 1
; COMPUTE_PGM_RSRC2:TGID_Y_EN: 0
; COMPUTE_PGM_RSRC2:TGID_Z_EN: 1
; COMPUTE_PGM_RSRC2:TIDIG_COMP_CNT: 0
	.section	.text._ZL26rocblas_trtri_small_kernelILi16EdPKPKdPKPdEv13rocblas_fill_17rocblas_diagonal_iT1_lillT2_lilli,"axG",@progbits,_ZL26rocblas_trtri_small_kernelILi16EdPKPKdPKPdEv13rocblas_fill_17rocblas_diagonal_iT1_lillT2_lilli,comdat
	.globl	_ZL26rocblas_trtri_small_kernelILi16EdPKPKdPKPdEv13rocblas_fill_17rocblas_diagonal_iT1_lillT2_lilli ; -- Begin function _ZL26rocblas_trtri_small_kernelILi16EdPKPKdPKPdEv13rocblas_fill_17rocblas_diagonal_iT1_lillT2_lilli
	.p2align	8
	.type	_ZL26rocblas_trtri_small_kernelILi16EdPKPKdPKPdEv13rocblas_fill_17rocblas_diagonal_iT1_lillT2_lilli,@function
_ZL26rocblas_trtri_small_kernelILi16EdPKPKdPKPdEv13rocblas_fill_17rocblas_diagonal_iT1_lillT2_lilli: ; @_ZL26rocblas_trtri_small_kernelILi16EdPKPKdPKPdEv13rocblas_fill_17rocblas_diagonal_iT1_lillT2_lilli
; %bb.0:
	s_load_b32 s15, s[0:1], 0x60
	s_bfe_u32 s2, ttmp6, 0x40014
	s_lshr_b32 s3, ttmp7, 16
	s_add_co_i32 s2, s2, 1
	s_bfe_u32 s4, ttmp6, 0x40008
	s_mul_i32 s2, s3, s2
	s_getreg_b32 s19, hwreg(HW_REG_IB_STS2, 6, 4)
	s_add_co_i32 s4, s4, s2
	s_cmp_eq_u32 s19, 0
	s_cselect_b32 s2, s3, s4
	s_mov_b32 s3, 0
	s_wait_kmcnt 0x0
	s_cmp_ge_u32 s2, s15
	s_cbranch_scc1 .LBB21_38
; %bb.1:
	s_clause 0x5
	s_load_b32 s20, s[0:1], 0x20
	s_load_b96 s[16:18], s[0:1], 0x40
	s_load_b96 s[12:14], s[0:1], 0x0
	s_load_b128 s[4:7], s[0:1], 0x30
	s_load_b128 s[8:11], s[0:1], 0x10
	s_load_b64 s[22:23], s[0:1], 0x58
	s_wait_xcnt 0x0
	s_bfe_u32 s1, ttmp6, 0x4000c
	s_and_b32 s0, ttmp6, 15
	s_add_co_i32 s1, s1, 1
	s_mov_b32 s25, s3
	s_mul_i32 s1, ttmp9, s1
	s_mov_b32 s31, s3
	s_add_co_i32 s1, s0, s1
	v_dual_add_nc_u32 v17, 1, v0 :: v_dual_lshlrev_b32 v4, 3, v0
	s_wait_kmcnt 0x0
	s_ashr_i32 s21, s20, 31
	s_ashr_i32 s35, s18, 31
	s_cmp_eq_u32 s19, 0
	s_mov_b32 s34, s18
	s_cselect_b32 s24, ttmp9, s1
	s_cmp_gt_i32 s14, 0
	s_mul_u64 s[4:5], s[4:5], s[24:25]
	s_cselect_b32 s1, -1, 0
	s_cmp_lg_u32 s12, 0x7a
	v_mul_lo_u32 v2, v0, s14
	s_cselect_b32 s26, -1, 0
	s_add_co_i32 s30, s14, -1
	s_delay_alu instid0(SALU_CYCLE_1)
	v_dual_mov_b32 v3, 0 :: v_dual_sub_nc_u32 v1, s30, v0
	s_cmp_lg_u32 s13, 0x84
	s_mul_u64 s[12:13], s[20:21], s[30:31]
	s_cselect_b32 s27, -1, 0
	s_lshl_b64 s[4:5], s[4:5], 3
	s_lshl_b64 s[12:13], s[12:13], 3
	v_dual_lshlrev_b32 v1, 3, v1 :: v_dual_mov_b32 v5, v3
	s_add_nc_u64 s[12:13], s[4:5], s[12:13]
	s_lshl_b64 s[10:11], s[10:11], 3
	s_mul_u64 s[18:19], s[22:23], s[24:25]
	s_add_nc_u64 s[12:13], s[12:13], s[10:11]
	s_lshl_b64 s[18:19], s[18:19], 3
	v_add_nc_u64_e32 v[6:7], s[12:13], v[4:5]
	s_lshl_b64 s[12:13], s[20:21], 3
	s_mul_u64 s[20:21], s[34:35], s[30:31]
	s_lshl_b64 s[16:17], s[16:17], 3
	s_lshl_b64 s[22:23], s[20:21], 3
	s_lshl_b32 s28, s14, 3
	s_add_nc_u64 s[22:23], s[18:19], s[22:23]
	v_cmp_gt_u32_e64 s0, s14, v0
	s_add_nc_u64 s[22:23], s[22:23], s[16:17]
	v_add_lshl_u32 v16, v2, v0, 3
	v_add_nc_u64_e32 v[8:9], s[22:23], v[4:5]
	v_add_nc_u32_e32 v18, s28, v4
	v_lshlrev_b32_e32 v2, 3, v0
	s_lshl_b64 s[22:23], s[34:35], 3
	s_sub_nc_u64 s[20:21], 0, s[12:13]
	s_add_co_i32 s29, s28, 8
	s_sub_nc_u64 s[24:25], 0, s[22:23]
	s_branch .LBB21_4
.LBB21_2:                               ;   in Loop: Header=BB21_4 Depth=1
	s_or_b32 exec_lo, exec_lo, s30
.LBB21_3:                               ;   in Loop: Header=BB21_4 Depth=1
	s_add_co_i32 s2, s2, 0x10000
	s_delay_alu instid0(SALU_CYCLE_1)
	s_cmp_lt_u32 s2, s15
	s_cbranch_scc0 .LBB21_38
.LBB21_4:                               ; =>This Loop Header: Depth=1
                                        ;     Child Loop BB21_8 Depth 2
                                        ;     Child Loop BB21_12 Depth 2
	;; [unrolled: 1-line block ×3, first 2 shown]
                                        ;       Child Loop BB21_26 Depth 3
                                        ;     Child Loop BB21_33 Depth 2
                                        ;     Child Loop BB21_37 Depth 2
	s_and_not1_b32 vcc_lo, exec_lo, s1
	s_cbranch_vccnz .LBB21_3
; %bb.5:                                ;   in Loop: Header=BB21_4 Depth=1
	v_mov_b32_e32 v5, s2
	global_load_b64 v[10:11], v5, s[6:7] scale_offset
	s_wait_xcnt 0x0
	s_and_saveexec_b32 s30, s0
	s_cbranch_execz .LBB21_13
; %bb.6:                                ;   in Loop: Header=BB21_4 Depth=1
	s_lshl_b64 s[34:35], s[2:3], 3
	s_and_not1_b32 vcc_lo, exec_lo, s26
	s_add_nc_u64 s[34:35], s[8:9], s[34:35]
	s_mov_b32 s31, -1
	global_load_b64 v[12:13], v3, s[34:35]
	s_cbranch_vccnz .LBB21_10
; %bb.7:                                ;   in Loop: Header=BB21_4 Depth=1
	s_wait_loadcnt 0x0
	v_add_nc_u64_e32 v[14:15], v[12:13], v[6:7]
	v_mov_b32_e32 v5, v1
	s_mov_b32 s31, 0
	s_mov_b32 s33, s14
.LBB21_8:                               ;   Parent Loop BB21_4 Depth=1
                                        ; =>  This Inner Loop Header: Depth=2
	flat_load_b64 v[20:21], v[14:15]
	s_add_co_i32 s33, s33, -1
	s_wait_xcnt 0x0
	v_add_nc_u64_e32 v[14:15], s[20:21], v[14:15]
	v_cmp_le_u32_e32 vcc_lo, s33, v0
	s_or_b32 s31, vcc_lo, s31
	s_wait_loadcnt_dscnt 0x0
	ds_store_b64 v5, v[20:21]
	v_add_nc_u32_e32 v5, s28, v5
	s_and_not1_b32 exec_lo, exec_lo, s31
	s_cbranch_execnz .LBB21_8
; %bb.9:                                ;   in Loop: Header=BB21_4 Depth=1
	s_or_b32 exec_lo, exec_lo, s31
	s_mov_b32 s31, 0
.LBB21_10:                              ;   in Loop: Header=BB21_4 Depth=1
	s_delay_alu instid0(SALU_CYCLE_1)
	s_and_b32 vcc_lo, exec_lo, s31
	s_cbranch_vccz .LBB21_13
; %bb.11:                               ;   in Loop: Header=BB21_4 Depth=1
	s_wait_loadcnt 0x0
	v_add_nc_u64_e32 v[12:13], s[10:11], v[12:13]
	v_dual_mov_b32 v5, v4 :: v_dual_mov_b32 v14, v17
	s_mov_b32 s31, 0
	s_delay_alu instid0(VALU_DEP_2) | instskip(NEXT) | instid1(VALU_DEP_1)
	v_add_nc_u64_e32 v[12:13], s[4:5], v[12:13]
	v_add_nc_u64_e32 v[12:13], v[12:13], v[2:3]
.LBB21_12:                              ;   Parent Loop BB21_4 Depth=1
                                        ; =>  This Inner Loop Header: Depth=2
	flat_load_b64 v[20:21], v[12:13]
	v_add_nc_u32_e32 v14, -1, v14
	s_wait_xcnt 0x0
	v_add_nc_u64_e32 v[12:13], s[12:13], v[12:13]
	s_wait_loadcnt_dscnt 0x0
	ds_store_b64 v5, v[20:21]
	v_add_nc_u32_e32 v5, s28, v5
	v_cmp_eq_u32_e32 vcc_lo, 0, v14
	s_or_b32 s31, vcc_lo, s31
	s_delay_alu instid0(SALU_CYCLE_1)
	s_and_not1_b32 exec_lo, exec_lo, s31
	s_cbranch_execnz .LBB21_12
.LBB21_13:                              ;   in Loop: Header=BB21_4 Depth=1
	s_wait_xcnt 0x0
	s_or_b32 exec_lo, exec_lo, s30
	; wave barrier
	s_wait_loadcnt_dscnt 0x0
	s_and_saveexec_b32 s30, s0
	s_cbranch_execz .LBB21_19
; %bb.14:                               ;   in Loop: Header=BB21_4 Depth=1
	v_mov_b64_e32 v[14:15], 1.0
	s_and_not1_b32 vcc_lo, exec_lo, s27
	s_cbranch_vccnz .LBB21_18
; %bb.15:                               ;   in Loop: Header=BB21_4 Depth=1
	ds_load_b64 v[12:13], v16
	v_mov_b64_e32 v[14:15], 1.0
	s_mov_b32 s31, exec_lo
	s_wait_dscnt 0x0
	v_cmpx_neq_f64_e32 0, v[12:13]
	s_cbranch_execz .LBB21_17
; %bb.16:                               ;   in Loop: Header=BB21_4 Depth=1
	v_div_scale_f64 v[14:15], null, v[12:13], v[12:13], 1.0
	s_delay_alu instid0(VALU_DEP_1) | instskip(SKIP_1) | instid1(TRANS32_DEP_1)
	v_rcp_f64_e32 v[20:21], v[14:15]
	v_nop
	v_fma_f64 v[22:23], -v[14:15], v[20:21], 1.0
	s_delay_alu instid0(VALU_DEP_1) | instskip(NEXT) | instid1(VALU_DEP_1)
	v_fmac_f64_e32 v[20:21], v[20:21], v[22:23]
	v_fma_f64 v[22:23], -v[14:15], v[20:21], 1.0
	s_delay_alu instid0(VALU_DEP_1) | instskip(SKIP_1) | instid1(VALU_DEP_1)
	v_fmac_f64_e32 v[20:21], v[20:21], v[22:23]
	v_div_scale_f64 v[22:23], vcc_lo, 1.0, v[12:13], 1.0
	v_mul_f64_e32 v[24:25], v[22:23], v[20:21]
	s_delay_alu instid0(VALU_DEP_1) | instskip(NEXT) | instid1(VALU_DEP_1)
	v_fma_f64 v[14:15], -v[14:15], v[24:25], v[22:23]
	v_div_fmas_f64 v[14:15], v[14:15], v[20:21], v[24:25]
	s_delay_alu instid0(VALU_DEP_1)
	v_div_fixup_f64 v[14:15], v[14:15], v[12:13], 1.0
.LBB21_17:                              ;   in Loop: Header=BB21_4 Depth=1
	s_or_b32 exec_lo, exec_lo, s31
.LBB21_18:                              ;   in Loop: Header=BB21_4 Depth=1
	ds_store_b64 v16, v[14:15]
.LBB21_19:                              ;   in Loop: Header=BB21_4 Depth=1
	s_or_b32 exec_lo, exec_lo, s30
	v_mov_b32_e32 v5, v18
	s_mov_b32 s30, 0
	s_mov_b32 s31, 8
	s_wait_dscnt 0x0
	; wave barrier
	s_branch .LBB21_21
.LBB21_20:                              ;   in Loop: Header=BB21_21 Depth=2
	v_add_nc_u32_e32 v5, s28, v5
	s_add_co_i32 s31, s31, s29
	s_cmp_eq_u32 s30, s14
	; wave barrier
	s_cbranch_scc1 .LBB21_30
.LBB21_21:                              ;   Parent Loop BB21_4 Depth=1
                                        ; =>  This Loop Header: Depth=2
                                        ;       Child Loop BB21_26 Depth 3
	v_mov_b64_e32 v[12:13], 0
	s_mul_i32 s33, s30, s14
	s_mov_b32 s34, exec_lo
	v_cmpx_lt_u32_e64 s30, v0
	s_cbranch_execz .LBB21_23
; %bb.22:                               ;   in Loop: Header=BB21_21 Depth=2
	s_lshl_b32 s35, s30, 3
	s_lshl_b32 s36, s33, 3
	s_delay_alu instid0(SALU_CYCLE_1) | instskip(NEXT) | instid1(SALU_CYCLE_1)
	s_add_co_i32 s35, s35, s36
	v_dual_add_nc_u32 v12, s36, v4 :: v_dual_mov_b32 v14, s35
	ds_load_b64 v[12:13], v12
	ds_load_b64 v[14:15], v14
	s_wait_dscnt 0x0
	v_fma_f64 v[12:13], v[12:13], v[14:15], 0
.LBB21_23:                              ;   in Loop: Header=BB21_21 Depth=2
	s_or_b32 exec_lo, exec_lo, s34
	s_add_co_i32 s30, s30, 1
	s_delay_alu instid0(SALU_CYCLE_1)
	s_cmp_ge_i32 s30, s14
	; wave barrier
	s_cbranch_scc1 .LBB21_20
; %bb.24:                               ;   in Loop: Header=BB21_21 Depth=2
	v_lshl_add_u32 v14, s33, 3, v4
	v_mov_b32_e32 v15, v5
	s_mov_b32 s33, s31
	s_mov_b32 s34, s30
	s_branch .LBB21_26
.LBB21_25:                              ;   in Loop: Header=BB21_26 Depth=3
	s_or_b32 exec_lo, exec_lo, s35
	v_add_nc_u32_e32 v15, s28, v15
	s_add_co_i32 s34, s34, 1
	s_add_co_i32 s33, s33, 8
	s_cmp_eq_u32 s14, s34
	; wave barrier
	s_cbranch_scc1 .LBB21_20
.LBB21_26:                              ;   Parent Loop BB21_4 Depth=1
                                        ;     Parent Loop BB21_21 Depth=2
                                        ; =>    This Inner Loop Header: Depth=3
	s_mov_b32 s35, exec_lo
	v_cmpx_eq_u32_e64 s34, v0
	s_cbranch_execz .LBB21_28
; %bb.27:                               ;   in Loop: Header=BB21_26 Depth=3
	s_delay_alu instid0(VALU_DEP_3)
	v_add_f64_e64 v[20:21], -v[12:13], 0
	ds_load_b64 v[22:23], v16
	s_wait_dscnt 0x0
	v_mul_f64_e32 v[20:21], v[20:21], v[22:23]
	ds_store_b64 v14, v[20:21]
.LBB21_28:                              ;   in Loop: Header=BB21_26 Depth=3
	s_or_b32 exec_lo, exec_lo, s35
	s_delay_alu instid0(SALU_CYCLE_1)
	s_mov_b32 s35, exec_lo
	s_wait_dscnt 0x0
	; wave barrier
	v_cmpx_lt_u32_e64 s34, v0
	s_cbranch_execz .LBB21_25
; %bb.29:                               ;   in Loop: Header=BB21_26 Depth=3
	v_mov_b32_e32 v19, s33
	ds_load_b64 v[20:21], v15
	ds_load_b64 v[22:23], v19
	s_wait_dscnt 0x0
	v_fmac_f64_e32 v[12:13], v[20:21], v[22:23]
	s_branch .LBB21_25
.LBB21_30:                              ;   in Loop: Header=BB21_4 Depth=1
	s_and_saveexec_b32 s30, s0
	s_cbranch_execz .LBB21_2
; %bb.31:                               ;   in Loop: Header=BB21_4 Depth=1
	s_and_not1_b32 vcc_lo, exec_lo, s26
	s_mov_b32 s31, -1
	s_cbranch_vccnz .LBB21_35
; %bb.32:                               ;   in Loop: Header=BB21_4 Depth=1
	v_add_nc_u64_e32 v[12:13], v[10:11], v[8:9]
	v_mov_b32_e32 v5, v1
	s_mov_b32 s31, 0
	s_mov_b32 s33, s14
.LBB21_33:                              ;   Parent Loop BB21_4 Depth=1
                                        ; =>  This Inner Loop Header: Depth=2
	ds_load_b64 v[14:15], v5
	s_add_co_i32 s33, s33, -1
	v_add_nc_u32_e32 v5, s28, v5
	v_cmp_le_u32_e32 vcc_lo, s33, v0
	s_or_b32 s31, vcc_lo, s31
	s_wait_dscnt 0x0
	flat_store_b64 v[12:13], v[14:15]
	s_wait_xcnt 0x0
	v_add_nc_u64_e32 v[12:13], s[24:25], v[12:13]
	s_and_not1_b32 exec_lo, exec_lo, s31
	s_cbranch_execnz .LBB21_33
; %bb.34:                               ;   in Loop: Header=BB21_4 Depth=1
	s_or_b32 exec_lo, exec_lo, s31
	s_mov_b32 s31, 0
.LBB21_35:                              ;   in Loop: Header=BB21_4 Depth=1
	s_delay_alu instid0(SALU_CYCLE_1)
	s_and_b32 vcc_lo, exec_lo, s31
	s_cbranch_vccz .LBB21_2
; %bb.36:                               ;   in Loop: Header=BB21_4 Depth=1
	v_add_nc_u64_e32 v[10:11], s[16:17], v[10:11]
	v_dual_mov_b32 v5, v4 :: v_dual_mov_b32 v12, v17
	s_mov_b32 s31, 0
	s_delay_alu instid0(VALU_DEP_2) | instskip(NEXT) | instid1(VALU_DEP_1)
	v_add_nc_u64_e32 v[10:11], s[18:19], v[10:11]
	v_add_nc_u64_e32 v[10:11], v[10:11], v[2:3]
.LBB21_37:                              ;   Parent Loop BB21_4 Depth=1
                                        ; =>  This Inner Loop Header: Depth=2
	ds_load_b64 v[14:15], v5
	v_dual_add_nc_u32 v12, -1, v12 :: v_dual_add_nc_u32 v5, s28, v5
	s_delay_alu instid0(VALU_DEP_1)
	v_cmp_eq_u32_e32 vcc_lo, 0, v12
	s_or_b32 s31, vcc_lo, s31
	s_wait_dscnt 0x0
	flat_store_b64 v[10:11], v[14:15]
	s_wait_xcnt 0x0
	v_add_nc_u64_e32 v[10:11], s[22:23], v[10:11]
	s_and_not1_b32 exec_lo, exec_lo, s31
	s_cbranch_execnz .LBB21_37
	s_branch .LBB21_2
.LBB21_38:
	s_endpgm
	.section	.rodata,"a",@progbits
	.p2align	6, 0x0
	.amdhsa_kernel _ZL26rocblas_trtri_small_kernelILi16EdPKPKdPKPdEv13rocblas_fill_17rocblas_diagonal_iT1_lillT2_lilli
		.amdhsa_group_segment_fixed_size 2048
		.amdhsa_private_segment_fixed_size 0
		.amdhsa_kernarg_size 100
		.amdhsa_user_sgpr_count 2
		.amdhsa_user_sgpr_dispatch_ptr 0
		.amdhsa_user_sgpr_queue_ptr 0
		.amdhsa_user_sgpr_kernarg_segment_ptr 1
		.amdhsa_user_sgpr_dispatch_id 0
		.amdhsa_user_sgpr_kernarg_preload_length 0
		.amdhsa_user_sgpr_kernarg_preload_offset 0
		.amdhsa_user_sgpr_private_segment_size 0
		.amdhsa_wavefront_size32 1
		.amdhsa_uses_dynamic_stack 0
		.amdhsa_enable_private_segment 0
		.amdhsa_system_sgpr_workgroup_id_x 1
		.amdhsa_system_sgpr_workgroup_id_y 0
		.amdhsa_system_sgpr_workgroup_id_z 1
		.amdhsa_system_sgpr_workgroup_info 0
		.amdhsa_system_vgpr_workitem_id 0
		.amdhsa_next_free_vgpr 26
		.amdhsa_next_free_sgpr 37
		.amdhsa_named_barrier_count 0
		.amdhsa_reserve_vcc 1
		.amdhsa_float_round_mode_32 0
		.amdhsa_float_round_mode_16_64 0
		.amdhsa_float_denorm_mode_32 3
		.amdhsa_float_denorm_mode_16_64 3
		.amdhsa_fp16_overflow 0
		.amdhsa_memory_ordered 1
		.amdhsa_forward_progress 1
		.amdhsa_inst_pref_size 11
		.amdhsa_round_robin_scheduling 0
		.amdhsa_exception_fp_ieee_invalid_op 0
		.amdhsa_exception_fp_denorm_src 0
		.amdhsa_exception_fp_ieee_div_zero 0
		.amdhsa_exception_fp_ieee_overflow 0
		.amdhsa_exception_fp_ieee_underflow 0
		.amdhsa_exception_fp_ieee_inexact 0
		.amdhsa_exception_int_div_zero 0
	.end_amdhsa_kernel
	.section	.text._ZL26rocblas_trtri_small_kernelILi16EdPKPKdPKPdEv13rocblas_fill_17rocblas_diagonal_iT1_lillT2_lilli,"axG",@progbits,_ZL26rocblas_trtri_small_kernelILi16EdPKPKdPKPdEv13rocblas_fill_17rocblas_diagonal_iT1_lillT2_lilli,comdat
.Lfunc_end21:
	.size	_ZL26rocblas_trtri_small_kernelILi16EdPKPKdPKPdEv13rocblas_fill_17rocblas_diagonal_iT1_lillT2_lilli, .Lfunc_end21-_ZL26rocblas_trtri_small_kernelILi16EdPKPKdPKPdEv13rocblas_fill_17rocblas_diagonal_iT1_lillT2_lilli
                                        ; -- End function
	.set _ZL26rocblas_trtri_small_kernelILi16EdPKPKdPKPdEv13rocblas_fill_17rocblas_diagonal_iT1_lillT2_lilli.num_vgpr, 26
	.set _ZL26rocblas_trtri_small_kernelILi16EdPKPKdPKPdEv13rocblas_fill_17rocblas_diagonal_iT1_lillT2_lilli.num_agpr, 0
	.set _ZL26rocblas_trtri_small_kernelILi16EdPKPKdPKPdEv13rocblas_fill_17rocblas_diagonal_iT1_lillT2_lilli.numbered_sgpr, 37
	.set _ZL26rocblas_trtri_small_kernelILi16EdPKPKdPKPdEv13rocblas_fill_17rocblas_diagonal_iT1_lillT2_lilli.num_named_barrier, 0
	.set _ZL26rocblas_trtri_small_kernelILi16EdPKPKdPKPdEv13rocblas_fill_17rocblas_diagonal_iT1_lillT2_lilli.private_seg_size, 0
	.set _ZL26rocblas_trtri_small_kernelILi16EdPKPKdPKPdEv13rocblas_fill_17rocblas_diagonal_iT1_lillT2_lilli.uses_vcc, 1
	.set _ZL26rocblas_trtri_small_kernelILi16EdPKPKdPKPdEv13rocblas_fill_17rocblas_diagonal_iT1_lillT2_lilli.uses_flat_scratch, 0
	.set _ZL26rocblas_trtri_small_kernelILi16EdPKPKdPKPdEv13rocblas_fill_17rocblas_diagonal_iT1_lillT2_lilli.has_dyn_sized_stack, 0
	.set _ZL26rocblas_trtri_small_kernelILi16EdPKPKdPKPdEv13rocblas_fill_17rocblas_diagonal_iT1_lillT2_lilli.has_recursion, 0
	.set _ZL26rocblas_trtri_small_kernelILi16EdPKPKdPKPdEv13rocblas_fill_17rocblas_diagonal_iT1_lillT2_lilli.has_indirect_call, 0
	.section	.AMDGPU.csdata,"",@progbits
; Kernel info:
; codeLenInByte = 1340
; TotalNumSgprs: 39
; NumVgprs: 26
; ScratchSize: 0
; MemoryBound: 0
; FloatMode: 240
; IeeeMode: 1
; LDSByteSize: 2048 bytes/workgroup (compile time only)
; SGPRBlocks: 0
; VGPRBlocks: 1
; NumSGPRsForWavesPerEU: 39
; NumVGPRsForWavesPerEU: 26
; NamedBarCnt: 0
; Occupancy: 16
; WaveLimiterHint : 0
; COMPUTE_PGM_RSRC2:SCRATCH_EN: 0
; COMPUTE_PGM_RSRC2:USER_SGPR: 2
; COMPUTE_PGM_RSRC2:TRAP_HANDLER: 0
; COMPUTE_PGM_RSRC2:TGID_X_EN: 1
; COMPUTE_PGM_RSRC2:TGID_Y_EN: 0
; COMPUTE_PGM_RSRC2:TGID_Z_EN: 1
; COMPUTE_PGM_RSRC2:TIDIG_COMP_CNT: 0
	.section	.text._ZL29rocblas_trtri_diagonal_kernelILi16EdPKPKdPKPdEv13rocblas_fill_17rocblas_diagonal_iT1_lillT2_lilli,"axG",@progbits,_ZL29rocblas_trtri_diagonal_kernelILi16EdPKPKdPKPdEv13rocblas_fill_17rocblas_diagonal_iT1_lillT2_lilli,comdat
	.globl	_ZL29rocblas_trtri_diagonal_kernelILi16EdPKPKdPKPdEv13rocblas_fill_17rocblas_diagonal_iT1_lillT2_lilli ; -- Begin function _ZL29rocblas_trtri_diagonal_kernelILi16EdPKPKdPKPdEv13rocblas_fill_17rocblas_diagonal_iT1_lillT2_lilli
	.p2align	8
	.type	_ZL29rocblas_trtri_diagonal_kernelILi16EdPKPKdPKPdEv13rocblas_fill_17rocblas_diagonal_iT1_lillT2_lilli,@function
_ZL29rocblas_trtri_diagonal_kernelILi16EdPKPKdPKPdEv13rocblas_fill_17rocblas_diagonal_iT1_lillT2_lilli: ; @_ZL29rocblas_trtri_diagonal_kernelILi16EdPKPKdPKPdEv13rocblas_fill_17rocblas_diagonal_iT1_lillT2_lilli
; %bb.0:
	s_load_b32 s7, s[0:1], 0x60
	s_bfe_u32 s2, ttmp6, 0x40014
	s_lshr_b32 s3, ttmp7, 16
	s_add_co_i32 s2, s2, 1
	s_bfe_u32 s4, ttmp6, 0x40008
	s_mul_i32 s2, s3, s2
	s_getreg_b32 s20, hwreg(HW_REG_IB_STS2, 6, 4)
	s_add_co_i32 s4, s4, s2
	s_cmp_eq_u32 s20, 0
	s_mov_b32 s19, 0
	s_cselect_b32 s33, s3, s4
	s_wait_kmcnt 0x0
	s_cmp_ge_u32 s33, s7
	s_cbranch_scc1 .LBB22_81
; %bb.1:
	s_clause 0x2
	s_load_b96 s[4:6], s[0:1], 0x0
	s_load_b128 s[8:11], s[0:1], 0x10
	s_load_b32 s26, s[0:1], 0x20
	s_bfe_u32 s22, ttmp6, 0x4000c
	v_cvt_f32_ubyte0_e32 v4, v0
	s_add_co_i32 s22, s22, 1
	s_mov_b32 s29, s19
	s_mul_i32 s22, ttmp9, s22
	v_dual_mov_b32 v3, 0 :: v_dual_lshlrev_b32 v2, 3, v0
	s_delay_alu instid0(VALU_DEP_1) | instskip(SKIP_4) | instid1(SALU_CYCLE_1)
	v_mov_b32_e32 v5, v3
	s_wait_kmcnt 0x0
	s_ashr_i32 s2, s6, 31
	s_ashr_i32 s27, s26, 31
	s_lshr_b32 s2, s2, 27
	s_add_co_i32 s2, s6, s2
	s_delay_alu instid0(SALU_CYCLE_1) | instskip(NEXT) | instid1(SALU_CYCLE_1)
	s_ashr_i32 s28, s2, 5
	s_cvt_f32_u32 s2, s28
	s_delay_alu instid0(SALU_CYCLE_3)
	v_rcp_iflag_f32_e32 v1, s2
	s_clause 0x2
	s_load_b96 s[16:18], s[0:1], 0x40
	s_load_b128 s[12:15], s[0:1], 0x30
	s_load_b64 s[2:3], s[0:1], 0x58
	s_wait_xcnt 0x0
	s_and_b32 s0, ttmp6, 15
	s_mov_b32 s1, s19
	s_add_co_i32 s0, s0, s22
	s_sub_co_i32 s22, 0, s28
	v_nop
	v_readfirstlane_b32 s21, v1
	v_mov_b32_e32 v1, v3
	s_mul_f32 s21, s21, 0x4f7ffffe
	s_delay_alu instid0(SALU_CYCLE_3) | instskip(SKIP_2) | instid1(SALU_CYCLE_1)
	s_cvt_u32_f32 s21, s21
	s_wait_kmcnt 0x0
	s_ashr_i32 s37, s18, 31
	s_mul_i32 s22, s22, s21
	s_mov_b32 s36, s18
	s_mul_hi_u32 s24, s21, s22
	s_lshl_b64 s[22:23], s[26:27], 5
	s_add_co_i32 s24, s21, s24
	s_cmp_eq_u32 s20, 0
	s_add_nc_u64 s[22:23], s[22:23], 32
	s_cselect_b32 s20, ttmp9, s0
	s_mov_b32 s21, s19
	s_mul_hi_u32 s0, s20, s24
	s_delay_alu instid0(SALU_CYCLE_1) | instskip(SKIP_2) | instid1(SALU_CYCLE_1)
	s_mul_i32 s24, s0, s28
	s_add_co_i32 s25, s0, 1
	s_sub_co_i32 s24, s20, s24
	s_sub_co_i32 s30, s24, s28
	s_cmp_ge_u32 s24, s28
	s_cselect_b32 s0, s25, s0
	s_cselect_b32 s18, s30, s24
	s_add_co_i32 s24, s0, 1
	s_cmp_ge_u32 s18, s28
	s_cselect_b32 s0, s24, s0
	s_lshl_b64 s[24:25], s[36:37], 5
	s_mul_i32 s18, s0, s28
	s_mul_u64 s[38:39], s[12:13], s[0:1]
	s_sub_co_i32 s18, s20, s18
	s_mul_u64 s[30:31], s[2:3], s[0:1]
	s_lshl_b32 s0, s18, 4
	s_add_nc_u64 s[12:13], s[24:25], 32
	s_sub_co_i32 s1, s6, s0
	s_mul_u64 s[24:25], s[22:23], s[18:19]
	s_mul_u64 s[34:35], s[12:13], s[18:19]
	s_min_u32 s18, s1, 16
	s_cmp_lg_u32 s6, s0
	v_cvt_f32_ubyte0_e32 v10, s18
	s_mul_u64 s[2:3], s[18:19], s[26:27]
	s_cselect_b32 s40, -1, 0
	s_lshl_b32 s6, s18, 1
	s_add_nc_u64 s[44:45], s[2:3], s[18:19]
	v_rcp_iflag_f32_e32 v12, v10
	v_mov_b32_e32 v6, s18
	v_cmp_gt_u32_e64 s2, s6, v0
	v_cmp_gt_u32_e32 vcc_lo, s18, v0
	s_mul_u64 s[12:13], s[18:19], s[36:37]
	s_cmp_lg_u32 s4, 0x7a
	s_add_nc_u64 s[46:47], s[12:13], s[18:19]
	v_dual_mul_f32 v12, v4, v12 :: v_dual_cndmask_b32 v13, s6, v6, s2
	v_cndmask_b32_e64 v7, 0, 0x1800, s2
	v_cndmask_b32_e64 v9, s45, 0, vcc_lo
	v_cndmask_b32_e64 v8, s44, 0, vcc_lo
	s_delay_alu instid0(VALU_DEP_4) | instskip(SKIP_4) | instid1(VALU_DEP_4)
	v_trunc_f32_e32 v12, v12
	v_cndmask_b32_e64 v21, v13, 0, vcc_lo
	v_cndmask_b32_e64 v11, v7, 0x1000, vcc_lo
	;; [unrolled: 1-line block ×4, first 2 shown]
	v_dual_fma_f32 v4, -v12, v10, v4 :: v_dual_lshlrev_b32 v20, 3, v21
	v_cvt_u32_f32_e32 v12, v12
	s_cselect_b32 s41, -1, 0
	s_cmp_lg_u32 s5, 0x84
	s_delay_alu instid0(VALU_DEP_2)
	v_cmp_ge_f32_e64 vcc_lo, |v4|, v10
	s_cselect_b32 s42, -1, 0
	s_add_co_i32 s28, s18, -1
	v_cmp_le_u32_e64 s3, s6, v0
	s_lshl_b64 s[22:23], s[38:39], 3
	v_add_co_ci_u32_e64 v12, null, 0, v12, vcc_lo
	s_lshl_b64 s[24:25], s[24:25], 3
	s_mul_i32 s6, s18, s28
	s_lshl_b64 s[38:39], s[28:29], 3
	s_mul_u64 s[28:29], s[26:27], s[28:29]
	v_lshlrev_b64_e32 v[8:9], 3, v[8:9]
	s_add_nc_u64 s[4:5], s[22:23], s[24:25]
	s_lshl_b64 s[28:29], s[28:29], 3
	v_mul_lo_u16 v10, v12, s18
	s_lshl_b64 s[10:11], s[10:11], 3
	s_add_nc_u64 s[28:29], s[4:5], s[28:29]
	s_mul_i32 s0, s18, 3
	s_mul_i32 s1, s18, s18
	s_add_nc_u64 s[28:29], s[10:11], s[28:29]
	v_cmp_gt_u32_e64 s0, s0, v0
	v_cmp_gt_u32_e64 s1, s1, v0
	v_sub_nc_u32_e32 v4, v0, v21
	v_sub_nc_u16 v0, v0, v10
	v_add_nc_u64_e32 v[14:15], s[28:29], v[8:9]
	s_lshl_b32 s20, s18, 3
	v_lshl_add_u32 v18, s6, 3, v2
	s_add_co_i32 s43, s18, 1
	s_add_nc_u64 s[38:39], s[20:21], s[38:39]
	v_and_b32_e32 v10, 0xffff, v0
	v_and_b32_e32 v0, 0xffff, v12
	s_add_nc_u64 s[44:45], s[10:11], s[4:5]
	s_mul_u64 s[38:39], s[38:39], s[26:27]
	v_mul_i32_i24_e32 v13, s43, v4
	v_add_nc_u64_e32 v[16:17], s[44:45], v[8:9]
	v_dual_add_nc_u32 v8, s18, v4 :: v_dual_lshlrev_b32 v34, 3, v10
	v_dual_sub_nc_u32 v18, v18, v20 :: v_dual_add_nc_u32 v24, s18, v10
	v_add_nc_u64_e32 v[22:23], v[14:15], v[2:3]
	s_add_nc_u64 s[4:5], s[4:5], s[38:39]
	v_lshlrev_b32_e32 v35, 7, v0
	v_add_lshl_u32 v28, v21, s18, 3
	v_mov_b32_e32 v21, v3
	s_add_nc_u64 s[38:39], s[4:5], s[10:11]
	v_lshl_add_u32 v33, v13, 3, v11
	v_cmp_gt_u16_e64 s6, 16, v12
	v_mul_u64_e32 v[12:13], s[36:37], v[0:1]
	v_dual_ashrrev_i32 v9, 31, v8 :: v_dual_add_nc_u32 v36, v11, v18
	v_add_nc_u64_e32 v[18:19], s[38:39], v[2:3]
	s_add_nc_u64 s[38:39], s[18:19], -1
	v_add_nc_u64_e32 v[26:27], v[16:17], v[2:3]
	v_sub_nc_u32_e32 v28, v28, v2
	v_sub_nc_u64_e32 v[16:17], v[22:23], v[20:21]
	v_add_nc_u32_e32 v22, s20, v2
	s_mul_u64 s[38:39], s[38:39], s[36:37]
	s_lshl_b64 s[30:31], s[30:31], 3
	s_lshl_b64 s[38:39], s[38:39], 3
	v_dual_sub_nc_u32 v23, s20, v34 :: v_dual_bitop2_b32 v38, 8, v11 bitop3:0x54
	s_add_nc_u64 s[38:39], s[38:39], s[30:31]
	s_lshl_b64 s[34:35], s[34:35], 3
	v_mul_u32_u24_e32 v25, s18, v0
	v_sub_nc_u32_e32 v22, v22, v20
	s_add_nc_u64 s[38:39], s[38:39], s[34:35]
	s_lshl_b64 s[16:17], s[16:17], 3
	v_sub_nc_u64_e32 v[14:15], v[18:19], v[20:21]
	v_sub_nc_u64_e32 v[18:19], v[26:27], v[20:21]
	v_mul_lo_u32 v26, s18, v23
	s_add_nc_u64 s[38:39], s[16:17], s[38:39]
	v_dual_lshlrev_b32 v25, 3, v25 :: v_dual_add_nc_u32 v39, v11, v22
	v_add_nc_u32_e32 v41, -1, v0
	v_lshl_add_u64 v[22:23], v[6:7], 3, s[38:39]
	s_movk_i32 s19, 0x88
	v_lshl_add_u32 v32, v4, 3, v11
	v_cmp_gt_i32_e64 s4, s18, v4
	v_cmp_lt_i32_e64 s5, -1, v4
	v_add_nc_u64_e32 v[22:23], v[22:23], v[2:3]
	v_dual_sub_nc_u32 v26, v26, v34 :: v_dual_add_nc_u32 v43, v35, v34
	v_add_nc_u32_e32 v1, 0x800, v34
	v_add3_u32 v37, v28, v11, -8
	v_sub_nc_u32_e32 v40, 0x1ff8, v35
	v_mad_u32_u24 v42, v0, s19, 0x1000
	v_sub_nc_u64_e32 v[20:21], v[22:23], v[20:21]
	v_dual_add_nc_u32 v44, -1, v10 :: v_dual_add_nc_u32 v49, 1, v4
	v_add3_u32 v45, v25, v34, 0x800
	v_add_nc_u32_e32 v46, 0xff8, v26
	v_add_nc_u32_e32 v47, 0x800, v25
	;; [unrolled: 1-line block ×3, first 2 shown]
	v_dual_lshlrev_b32 v22, 3, v10 :: v_dual_lshlrev_b32 v2, 3, v24
	s_lshl_b64 s[26:27], s[26:27], 3
	s_lshl_b64 s[36:37], s[36:37], 3
	s_sub_co_i32 s21, 0, s20
	s_sub_nc_u64 s[28:29], 0, s[26:27]
	s_add_co_i32 s19, s20, 8
	s_sub_nc_u64 s[38:39], 0, s[36:37]
	s_branch .LBB22_4
.LBB22_2:                               ;   in Loop: Header=BB22_4 Depth=1
	s_or_b32 exec_lo, exec_lo, s44
.LBB22_3:                               ;   in Loop: Header=BB22_4 Depth=1
	s_add_co_i32 s33, s33, 0x10000
	s_delay_alu instid0(SALU_CYCLE_1)
	s_cmp_lt_u32 s33, s7
	s_cbranch_scc0 .LBB22_81
.LBB22_4:                               ; =>This Loop Header: Depth=1
                                        ;     Child Loop BB22_9 Depth 2
                                        ;     Child Loop BB22_13 Depth 2
	;; [unrolled: 1-line block ×5, first 2 shown]
                                        ;       Child Loop BB22_41 Depth 3
                                        ;     Child Loop BB22_48 Depth 2
                                        ;     Child Loop BB22_55 Depth 2
	;; [unrolled: 1-line block ×6, first 2 shown]
	s_and_not1_b32 vcc_lo, exec_lo, s40
	s_cbranch_vccnz .LBB22_3
; %bb.5:                                ;   in Loop: Header=BB22_4 Depth=1
	v_mov_b32_e32 v23, s33
	s_clause 0x1
	global_load_b64 v[26:27], v23, s[8:9] scale_offset
	global_load_b64 v[24:25], v23, s[14:15] scale_offset
	s_wait_xcnt 0x0
	s_and_saveexec_b32 s44, s3
	s_delay_alu instid0(SALU_CYCLE_1)
	s_xor_b32 s44, exec_lo, s44
	s_cbranch_execz .LBB22_15
; %bb.6:                                ;   in Loop: Header=BB22_4 Depth=1
	s_and_saveexec_b32 s45, s0
	s_cbranch_execz .LBB22_14
; %bb.7:                                ;   in Loop: Header=BB22_4 Depth=1
	s_and_not1_b32 vcc_lo, exec_lo, s41
	s_mov_b32 s46, -1
	s_cbranch_vccnz .LBB22_11
; %bb.8:                                ;   in Loop: Header=BB22_4 Depth=1
	s_wait_loadcnt 0x1
	v_add_nc_u64_e32 v[28:29], v[26:27], v[14:15]
	v_mov_b32_e32 v23, v36
	s_mov_b32 s46, s43
.LBB22_9:                               ;   Parent Loop BB22_4 Depth=1
                                        ; =>  This Inner Loop Header: Depth=2
	flat_load_b64 v[30:31], v[28:29]
	s_wait_xcnt 0x0
	v_add_nc_u64_e32 v[28:29], s[28:29], v[28:29]
	s_add_co_i32 s46, s46, -1
	s_delay_alu instid0(SALU_CYCLE_1)
	s_cmp_gt_u32 s46, 1
	s_wait_loadcnt_dscnt 0x0
	ds_store_b64 v23, v[30:31]
	v_add_nc_u32_e32 v23, s21, v23
	s_cbranch_scc1 .LBB22_9
; %bb.10:                               ;   in Loop: Header=BB22_4 Depth=1
	s_mov_b32 s46, 0
.LBB22_11:                              ;   in Loop: Header=BB22_4 Depth=1
	s_delay_alu instid0(SALU_CYCLE_1)
	s_and_b32 vcc_lo, exec_lo, s46
	s_cbranch_vccz .LBB22_14
; %bb.12:                               ;   in Loop: Header=BB22_4 Depth=1
	s_wait_loadcnt 0x1
	v_add_nc_u64_e32 v[26:27], s[10:11], v[26:27]
	v_mov_b32_e32 v23, v32
	s_mov_b32 s46, s18
	s_delay_alu instid0(VALU_DEP_2) | instskip(NEXT) | instid1(VALU_DEP_1)
	v_add_nc_u64_e32 v[26:27], s[24:25], v[26:27]
	v_add_nc_u64_e32 v[26:27], s[22:23], v[26:27]
	s_delay_alu instid0(VALU_DEP_1)
	v_lshl_add_u64 v[26:27], v[8:9], 3, v[26:27]
.LBB22_13:                              ;   Parent Loop BB22_4 Depth=1
                                        ; =>  This Inner Loop Header: Depth=2
	flat_load_b64 v[28:29], v[26:27]
	s_wait_xcnt 0x0
	v_add_nc_u64_e32 v[26:27], s[26:27], v[26:27]
	s_add_co_i32 s46, s46, -1
	s_delay_alu instid0(SALU_CYCLE_1)
	s_cmp_eq_u32 s46, 0
	s_wait_loadcnt_dscnt 0x0
	ds_store_b64 v23, v[28:29]
	v_add_nc_u32_e32 v23, s20, v23
	s_cbranch_scc0 .LBB22_13
.LBB22_14:                              ;   in Loop: Header=BB22_4 Depth=1
	s_or_b32 exec_lo, exec_lo, s45
                                        ; implicit-def: $vgpr26_vgpr27
.LBB22_15:                              ;   in Loop: Header=BB22_4 Depth=1
	s_and_not1_saveexec_b32 s44, s44
	s_cbranch_execz .LBB22_27
; %bb.16:                               ;   in Loop: Header=BB22_4 Depth=1
	s_and_b32 vcc_lo, exec_lo, s41
	s_mov_b32 s45, -1
	s_cbranch_vccz .LBB22_22
; %bb.17:                               ;   in Loop: Header=BB22_4 Depth=1
	s_wait_loadcnt 0x1
	v_add_nc_u64_e32 v[28:29], v[26:27], v[16:17]
	v_mov_b32_e32 v23, v37
	s_mov_b32 s45, s18
	s_branch .LBB22_19
.LBB22_18:                              ;   in Loop: Header=BB22_19 Depth=2
	s_wait_xcnt 0x0
	s_or_b32 exec_lo, exec_lo, s46
	v_add_nc_u64_e32 v[28:29], s[28:29], v[28:29]
	s_wait_loadcnt_dscnt 0x0
	ds_store_b64 v23, v[30:31]
	v_add_nc_u32_e32 v23, s20, v23
	s_cmp_lt_i32 s45, 1
	s_cbranch_scc1 .LBB22_21
.LBB22_19:                              ;   Parent Loop BB22_4 Depth=1
                                        ; =>  This Inner Loop Header: Depth=2
	v_mov_b64_e32 v[30:31], 0
	s_add_co_i32 s45, s45, -1
	s_mov_b32 s46, exec_lo
	v_cmpx_ge_i32_e64 s45, v4
	s_cbranch_execz .LBB22_18
; %bb.20:                               ;   in Loop: Header=BB22_19 Depth=2
	flat_load_b64 v[30:31], v[28:29]
	s_branch .LBB22_18
.LBB22_21:                              ;   in Loop: Header=BB22_4 Depth=1
	s_mov_b32 s45, 0
.LBB22_22:                              ;   in Loop: Header=BB22_4 Depth=1
	s_delay_alu instid0(SALU_CYCLE_1)
	s_and_b32 vcc_lo, exec_lo, s45
	s_cbranch_vccz .LBB22_27
; %bb.23:                               ;   in Loop: Header=BB22_4 Depth=1
	s_wait_loadcnt 0x1
	v_add_nc_u64_e32 v[26:27], v[26:27], v[18:19]
	v_mov_b32_e32 v23, v32
	s_mov_b32 s45, 0
	s_branch .LBB22_25
.LBB22_24:                              ;   in Loop: Header=BB22_25 Depth=2
	s_wait_xcnt 0x0
	s_or_b32 exec_lo, exec_lo, s46
	v_add_nc_u64_e32 v[26:27], s[26:27], v[26:27]
	s_wait_loadcnt_dscnt 0x0
	ds_store_b64 v23, v[28:29]
	v_add_nc_u32_e32 v23, s20, v23
	s_add_co_i32 s45, s45, 1
	s_delay_alu instid0(SALU_CYCLE_1)
	s_cmp_eq_u32 s18, s45
	s_cbranch_scc1 .LBB22_27
.LBB22_25:                              ;   Parent Loop BB22_4 Depth=1
                                        ; =>  This Inner Loop Header: Depth=2
	v_mov_b64_e32 v[28:29], 0
	s_mov_b32 s46, exec_lo
	v_cmpx_le_i32_e64 s45, v4
	s_cbranch_execz .LBB22_24
; %bb.26:                               ;   in Loop: Header=BB22_25 Depth=2
	flat_load_b64 v[28:29], v[26:27]
	s_branch .LBB22_24
.LBB22_27:                              ;   in Loop: Header=BB22_4 Depth=1
	s_or_b32 exec_lo, exec_lo, s44
	s_wait_loadcnt_dscnt 0x0
	s_barrier_signal -1
	s_barrier_wait -1
	s_and_saveexec_b32 s44, s2
	s_cbranch_execz .LBB22_33
; %bb.28:                               ;   in Loop: Header=BB22_4 Depth=1
	v_mov_b64_e32 v[28:29], 1.0
	s_and_not1_b32 vcc_lo, exec_lo, s42
	s_cbranch_vccnz .LBB22_32
; %bb.29:                               ;   in Loop: Header=BB22_4 Depth=1
	ds_load_b64 v[26:27], v33
	v_mov_b64_e32 v[28:29], 1.0
	s_mov_b32 s45, exec_lo
	s_wait_dscnt 0x0
	v_cmpx_neq_f64_e32 0, v[26:27]
	s_cbranch_execz .LBB22_31
; %bb.30:                               ;   in Loop: Header=BB22_4 Depth=1
	v_div_scale_f64 v[28:29], null, v[26:27], v[26:27], 1.0
	s_delay_alu instid0(VALU_DEP_1) | instskip(SKIP_1) | instid1(TRANS32_DEP_1)
	v_rcp_f64_e32 v[30:31], v[28:29]
	v_nop
	v_fma_f64 v[50:51], -v[28:29], v[30:31], 1.0
	s_delay_alu instid0(VALU_DEP_1) | instskip(NEXT) | instid1(VALU_DEP_1)
	v_fmac_f64_e32 v[30:31], v[30:31], v[50:51]
	v_fma_f64 v[50:51], -v[28:29], v[30:31], 1.0
	s_delay_alu instid0(VALU_DEP_1) | instskip(SKIP_1) | instid1(VALU_DEP_1)
	v_fmac_f64_e32 v[30:31], v[30:31], v[50:51]
	v_div_scale_f64 v[50:51], vcc_lo, 1.0, v[26:27], 1.0
	v_mul_f64_e32 v[52:53], v[50:51], v[30:31]
	s_delay_alu instid0(VALU_DEP_1) | instskip(NEXT) | instid1(VALU_DEP_1)
	v_fma_f64 v[28:29], -v[28:29], v[52:53], v[50:51]
	v_div_fmas_f64 v[28:29], v[28:29], v[30:31], v[52:53]
	s_delay_alu instid0(VALU_DEP_1)
	v_div_fixup_f64 v[28:29], v[28:29], v[26:27], 1.0
.LBB22_31:                              ;   in Loop: Header=BB22_4 Depth=1
	s_or_b32 exec_lo, exec_lo, s45
.LBB22_32:                              ;   in Loop: Header=BB22_4 Depth=1
	ds_store_b64 v33, v[28:29]
.LBB22_33:                              ;   in Loop: Header=BB22_4 Depth=1
	s_or_b32 exec_lo, exec_lo, s44
	s_wait_dscnt 0x0
	s_barrier_signal -1
	s_barrier_wait -1
	s_and_saveexec_b32 s44, s2
	s_cbranch_execz .LBB22_45
; %bb.34:                               ;   in Loop: Header=BB22_4 Depth=1
	v_dual_mov_b32 v23, v39 :: v_dual_mov_b32 v28, v38
	s_mov_b32 s45, 0
	s_branch .LBB22_36
.LBB22_35:                              ;   in Loop: Header=BB22_36 Depth=2
	v_dual_add_nc_u32 v28, s19, v28 :: v_dual_add_nc_u32 v23, s20, v23
	s_cmp_eq_u32 s45, s18
	s_cbranch_scc1 .LBB22_45
.LBB22_36:                              ;   Parent Loop BB22_4 Depth=1
                                        ; =>  This Loop Header: Depth=2
                                        ;       Child Loop BB22_41 Depth 3
	v_mov_b64_e32 v[26:27], 0
	s_mul_i32 s46, s45, s18
	s_mov_b32 s47, exec_lo
	v_cmpx_lt_i32_e64 s45, v4
	s_cbranch_execz .LBB22_38
; %bb.37:                               ;   in Loop: Header=BB22_36 Depth=2
	s_lshl_b32 s48, s46, 3
	s_lshl_b32 s49, s45, 3
	v_add_nc_u32_e32 v26, s48, v32
	v_add3_u32 v29, s48, s49, v11
	ds_load_b64 v[26:27], v26
	ds_load_b64 v[30:31], v29
	s_wait_dscnt 0x0
	v_fma_f64 v[26:27], v[26:27], v[30:31], 0
.LBB22_38:                              ;   in Loop: Header=BB22_36 Depth=2
	s_or_b32 exec_lo, exec_lo, s47
	s_add_co_i32 s45, s45, 1
	s_delay_alu instid0(SALU_CYCLE_1)
	s_cmp_ge_u32 s45, s18
	s_cbranch_scc1 .LBB22_35
; %bb.39:                               ;   in Loop: Header=BB22_36 Depth=2
	v_lshl_add_u32 v29, s46, 3, v32
	v_dual_mov_b32 v30, v23 :: v_dual_mov_b32 v31, v28
	s_mov_b32 s46, s45
	s_branch .LBB22_41
.LBB22_40:                              ;   in Loop: Header=BB22_41 Depth=3
	s_or_b32 exec_lo, exec_lo, s47
	v_dual_add_nc_u32 v31, 8, v31 :: v_dual_add_nc_u32 v30, s20, v30
	s_add_co_i32 s46, s46, 1
	s_delay_alu instid0(SALU_CYCLE_1)
	s_cmp_eq_u32 s18, s46
	s_cbranch_scc1 .LBB22_35
.LBB22_41:                              ;   Parent Loop BB22_4 Depth=1
                                        ;     Parent Loop BB22_36 Depth=2
                                        ; =>    This Inner Loop Header: Depth=3
	s_mov_b32 s47, exec_lo
	v_cmpx_eq_u32_e64 s46, v4
	s_cbranch_execz .LBB22_43
; %bb.42:                               ;   in Loop: Header=BB22_41 Depth=3
	s_delay_alu instid0(VALU_DEP_3)
	v_add_f64_e64 v[50:51], -v[26:27], 0
	ds_load_b64 v[52:53], v33
	s_wait_dscnt 0x0
	v_mul_f64_e32 v[50:51], v[50:51], v[52:53]
	ds_store_b64 v29, v[50:51]
.LBB22_43:                              ;   in Loop: Header=BB22_41 Depth=3
	s_or_b32 exec_lo, exec_lo, s47
	s_delay_alu instid0(SALU_CYCLE_1)
	s_mov_b32 s47, exec_lo
	v_cmpx_lt_i32_e64 s46, v4
	s_cbranch_execz .LBB22_40
; %bb.44:                               ;   in Loop: Header=BB22_41 Depth=3
	ds_load_b64 v[50:51], v30
	ds_load_b64 v[52:53], v31
	s_wait_dscnt 0x0
	v_fmac_f64_e32 v[26:27], v[50:51], v[52:53]
	s_branch .LBB22_40
.LBB22_45:                              ;   in Loop: Header=BB22_4 Depth=1
	s_or_b32 exec_lo, exec_lo, s44
	s_delay_alu instid0(SALU_CYCLE_1)
	s_and_b32 vcc_lo, exec_lo, s41
	s_mov_b32 s44, -1
	s_wait_dscnt 0x0
	s_barrier_signal -1
	s_barrier_wait -1
	s_cbranch_vccz .LBB22_51
; %bb.46:                               ;   in Loop: Header=BB22_4 Depth=1
	s_and_saveexec_b32 s44, s1
	s_cbranch_execz .LBB22_50
; %bb.47:                               ;   in Loop: Header=BB22_4 Depth=1
	v_mov_b64_e32 v[26:27], 0
	v_dual_mov_b32 v23, v34 :: v_dual_mov_b32 v28, v40
	s_mov_b32 s46, -1
	s_mov_b32 s45, 0
.LBB22_48:                              ;   Parent Loop BB22_4 Depth=1
                                        ; =>  This Inner Loop Header: Depth=2
	ds_load_b64 v[30:31], v23
	ds_load_b64 v[50:51], v28
	s_add_co_i32 s46, s46, 1
	v_add_nc_u32_e32 v28, -8, v28
	v_cmp_ge_u32_e32 vcc_lo, s46, v0
	v_add_nc_u32_e32 v23, 0x80, v23
	s_or_b32 s45, vcc_lo, s45
	s_wait_dscnt 0x0
	v_fmac_f64_e32 v[26:27], v[30:31], v[50:51]
	s_and_not1_b32 exec_lo, exec_lo, s45
	s_cbranch_execnz .LBB22_48
; %bb.49:                               ;   in Loop: Header=BB22_4 Depth=1
	s_or_b32 exec_lo, exec_lo, s45
	v_add_nc_u32_e32 v23, v1, v35
	ds_store_b64 v23, v[26:27]
.LBB22_50:                              ;   in Loop: Header=BB22_4 Depth=1
	s_or_b32 exec_lo, exec_lo, s44
	s_mov_b32 s44, 0
.LBB22_51:                              ;   in Loop: Header=BB22_4 Depth=1
	s_delay_alu instid0(SALU_CYCLE_1)
	s_and_not1_b32 vcc_lo, exec_lo, s44
	s_cbranch_vccnz .LBB22_59
; %bb.52:                               ;   in Loop: Header=BB22_4 Depth=1
	s_and_saveexec_b32 s44, s1
	s_cbranch_execz .LBB22_58
; %bb.53:                               ;   in Loop: Header=BB22_4 Depth=1
	v_mov_b64_e32 v[26:27], 0
	s_and_saveexec_b32 s45, s6
	s_cbranch_execz .LBB22_57
; %bb.54:                               ;   in Loop: Header=BB22_4 Depth=1
	v_mov_b64_e32 v[26:27], 0
	v_dual_mov_b32 v23, v43 :: v_dual_mov_b32 v28, v42
	v_mov_b32_e32 v29, v41
	s_mov_b32 s46, 0
.LBB22_55:                              ;   Parent Loop BB22_4 Depth=1
                                        ; =>  This Inner Loop Header: Depth=2
	ds_load_b64 v[30:31], v23
	ds_load_b64 v[50:51], v28
	v_dual_add_nc_u32 v29, 1, v29 :: v_dual_add_nc_u32 v28, 8, v28
	v_add_nc_u32_e32 v23, 0x80, v23
	s_delay_alu instid0(VALU_DEP_2)
	v_cmp_lt_u32_e32 vcc_lo, 14, v29
	s_or_b32 s46, vcc_lo, s46
	s_wait_dscnt 0x0
	v_fmac_f64_e32 v[26:27], v[30:31], v[50:51]
	s_and_not1_b32 exec_lo, exec_lo, s46
	s_cbranch_execnz .LBB22_55
; %bb.56:                               ;   in Loop: Header=BB22_4 Depth=1
	s_or_b32 exec_lo, exec_lo, s46
.LBB22_57:                              ;   in Loop: Header=BB22_4 Depth=1
	s_delay_alu instid0(SALU_CYCLE_1)
	s_or_b32 exec_lo, exec_lo, s45
	v_add_nc_u32_e32 v23, v1, v35
	ds_store_b64 v23, v[26:27]
.LBB22_58:                              ;   in Loop: Header=BB22_4 Depth=1
	s_or_b32 exec_lo, exec_lo, s44
.LBB22_59:                              ;   in Loop: Header=BB22_4 Depth=1
	v_add_nc_u64_e32 v[26:27], s[16:17], v[24:25]
	s_and_b32 vcc_lo, exec_lo, s41
	s_mov_b32 s44, -1
	s_wait_dscnt 0x0
	s_barrier_signal -1
	s_barrier_wait -1
	s_delay_alu instid0(VALU_DEP_1) | instskip(NEXT) | instid1(VALU_DEP_1)
	v_add_nc_u64_e32 v[26:27], s[34:35], v[26:27]
	v_add_nc_u64_e32 v[26:27], s[30:31], v[26:27]
	s_cbranch_vccnz .LBB22_62
; %bb.60:                               ;   in Loop: Header=BB22_4 Depth=1
	s_and_not1_b32 vcc_lo, exec_lo, s44
	s_cbranch_vccz .LBB22_67
.LBB22_61:                              ;   in Loop: Header=BB22_4 Depth=1
	s_and_saveexec_b32 s44, s2
	s_cbranch_execz .LBB22_2
	s_branch .LBB22_72
.LBB22_62:                              ;   in Loop: Header=BB22_4 Depth=1
	s_and_saveexec_b32 s44, s1
	s_cbranch_execz .LBB22_66
; %bb.63:                               ;   in Loop: Header=BB22_4 Depth=1
	v_mov_b64_e32 v[28:29], 0
	v_dual_mov_b32 v23, v46 :: v_dual_mov_b32 v30, v45
	v_mov_b32_e32 v31, v44
	s_mov_b32 s45, 0
.LBB22_64:                              ;   Parent Loop BB22_4 Depth=1
                                        ; =>  This Inner Loop Header: Depth=2
	ds_load_b64 v[50:51], v23
	ds_load_b64 v[52:53], v30
	v_dual_add_nc_u32 v30, 8, v30 :: v_dual_add_nc_u32 v23, s21, v23
	v_add_nc_u32_e32 v31, 1, v31
	s_delay_alu instid0(VALU_DEP_1)
	v_cmp_lt_u32_e32 vcc_lo, 14, v31
	s_or_b32 s45, vcc_lo, s45
	s_wait_dscnt 0x0
	v_fma_f64 v[28:29], -v[50:51], v[52:53], v[28:29]
	s_and_not1_b32 exec_lo, exec_lo, s45
	s_cbranch_execnz .LBB22_64
; %bb.65:                               ;   in Loop: Header=BB22_4 Depth=1
	s_or_b32 exec_lo, exec_lo, s45
	s_lshl_b64 s[46:47], s[12:13], 3
	v_mov_b32_e32 v23, v3
	v_add_nc_u64_e32 v[30:31], s[46:47], v[26:27]
	s_delay_alu instid0(VALU_DEP_1) | instskip(NEXT) | instid1(VALU_DEP_1)
	v_add_nc_u64_e32 v[30:31], v[30:31], v[22:23]
	v_lshl_add_u64 v[30:31], v[12:13], 3, v[30:31]
	flat_store_b64 v[30:31], v[28:29]
.LBB22_66:                              ;   in Loop: Header=BB22_4 Depth=1
	s_wait_xcnt 0x0
	s_or_b32 exec_lo, exec_lo, s44
	s_cbranch_execnz .LBB22_61
.LBB22_67:                              ;   in Loop: Header=BB22_4 Depth=1
	s_and_saveexec_b32 s44, s1
	s_cbranch_execz .LBB22_71
; %bb.68:                               ;   in Loop: Header=BB22_4 Depth=1
	v_mov_b64_e32 v[28:29], 0
	v_dual_mov_b32 v23, v48 :: v_dual_mov_b32 v30, v47
	s_mov_b32 s46, -1
	s_mov_b32 s45, 0
.LBB22_69:                              ;   Parent Loop BB22_4 Depth=1
                                        ; =>  This Inner Loop Header: Depth=2
	ds_load_b64 v[50:51], v23
	ds_load_b64 v[52:53], v30
	s_add_co_i32 s46, s46, 1
	v_add_nc_u32_e32 v23, s20, v23
	v_cmp_ge_u32_e32 vcc_lo, s46, v10
	v_add_nc_u32_e32 v30, 8, v30
	s_or_b32 s45, vcc_lo, s45
	s_wait_dscnt 0x0
	v_fma_f64 v[28:29], -v[50:51], v[52:53], v[28:29]
	s_and_not1_b32 exec_lo, exec_lo, s45
	s_cbranch_execnz .LBB22_69
; %bb.70:                               ;   in Loop: Header=BB22_4 Depth=1
	s_or_b32 exec_lo, exec_lo, s45
	v_lshl_add_u64 v[30:31], v[12:13], 3, v[26:27]
	s_delay_alu instid0(VALU_DEP_1)
	v_add_nc_u64_e32 v[30:31], v[30:31], v[2:3]
	flat_store_b64 v[30:31], v[28:29]
.LBB22_71:                              ;   in Loop: Header=BB22_4 Depth=1
	s_wait_xcnt 0x0
	s_or_b32 exec_lo, exec_lo, s44
	s_and_saveexec_b32 s44, s2
	s_cbranch_execz .LBB22_2
.LBB22_72:                              ;   in Loop: Header=BB22_4 Depth=1
	s_and_b32 vcc_lo, exec_lo, s41
	s_mov_b32 s45, -1
	s_cbranch_vccz .LBB22_77
; %bb.73:                               ;   in Loop: Header=BB22_4 Depth=1
	s_and_saveexec_b32 s45, s4
	s_cbranch_execz .LBB22_76
; %bb.74:                               ;   in Loop: Header=BB22_4 Depth=1
	v_add_nc_u64_e32 v[24:25], v[24:25], v[20:21]
	v_mov_b32_e32 v23, v37
	s_mov_b32 s46, 0
	s_mov_b32 s47, s18
.LBB22_75:                              ;   Parent Loop BB22_4 Depth=1
                                        ; =>  This Inner Loop Header: Depth=2
	ds_load_b64 v[28:29], v23
	s_add_co_i32 s47, s47, -1
	v_add_nc_u32_e32 v23, s20, v23
	v_cmp_le_i32_e32 vcc_lo, s47, v4
	s_or_b32 s46, vcc_lo, s46
	s_wait_dscnt 0x0
	flat_store_b64 v[24:25], v[28:29]
	s_wait_xcnt 0x0
	v_add_nc_u64_e32 v[24:25], s[38:39], v[24:25]
	s_and_not1_b32 exec_lo, exec_lo, s46
	s_cbranch_execnz .LBB22_75
.LBB22_76:                              ;   in Loop: Header=BB22_4 Depth=1
	s_or_b32 exec_lo, exec_lo, s45
	s_mov_b32 s45, 0
.LBB22_77:                              ;   in Loop: Header=BB22_4 Depth=1
	s_delay_alu instid0(SALU_CYCLE_1)
	s_and_not1_b32 vcc_lo, exec_lo, s45
	s_cbranch_vccnz .LBB22_2
; %bb.78:                               ;   in Loop: Header=BB22_4 Depth=1
	s_and_b32 exec_lo, exec_lo, s5
	s_cbranch_execz .LBB22_2
; %bb.79:                               ;   in Loop: Header=BB22_4 Depth=1
	v_lshl_add_u64 v[24:25], v[6:7], 3, v[26:27]
	v_dual_mov_b32 v23, v32 :: v_dual_mov_b32 v26, v49
	s_mov_b32 s45, 0
	s_delay_alu instid0(VALU_DEP_2)
	v_lshl_add_u64 v[24:25], v[4:5], 3, v[24:25]
.LBB22_80:                              ;   Parent Loop BB22_4 Depth=1
                                        ; =>  This Inner Loop Header: Depth=2
	ds_load_b64 v[28:29], v23
	v_dual_add_nc_u32 v26, -1, v26 :: v_dual_add_nc_u32 v23, s20, v23
	s_delay_alu instid0(VALU_DEP_1)
	v_cmp_eq_u32_e32 vcc_lo, 0, v26
	s_or_b32 s45, vcc_lo, s45
	s_wait_dscnt 0x0
	flat_store_b64 v[24:25], v[28:29]
	s_wait_xcnt 0x0
	v_add_nc_u64_e32 v[24:25], s[36:37], v[24:25]
	s_and_not1_b32 exec_lo, exec_lo, s45
	s_cbranch_execnz .LBB22_80
	s_branch .LBB22_2
.LBB22_81:
	s_endpgm
	.section	.rodata,"a",@progbits
	.p2align	6, 0x0
	.amdhsa_kernel _ZL29rocblas_trtri_diagonal_kernelILi16EdPKPKdPKPdEv13rocblas_fill_17rocblas_diagonal_iT1_lillT2_lilli
		.amdhsa_group_segment_fixed_size 8192
		.amdhsa_private_segment_fixed_size 0
		.amdhsa_kernarg_size 100
		.amdhsa_user_sgpr_count 2
		.amdhsa_user_sgpr_dispatch_ptr 0
		.amdhsa_user_sgpr_queue_ptr 0
		.amdhsa_user_sgpr_kernarg_segment_ptr 1
		.amdhsa_user_sgpr_dispatch_id 0
		.amdhsa_user_sgpr_kernarg_preload_length 0
		.amdhsa_user_sgpr_kernarg_preload_offset 0
		.amdhsa_user_sgpr_private_segment_size 0
		.amdhsa_wavefront_size32 1
		.amdhsa_uses_dynamic_stack 0
		.amdhsa_enable_private_segment 0
		.amdhsa_system_sgpr_workgroup_id_x 1
		.amdhsa_system_sgpr_workgroup_id_y 0
		.amdhsa_system_sgpr_workgroup_id_z 1
		.amdhsa_system_sgpr_workgroup_info 0
		.amdhsa_system_vgpr_workitem_id 0
		.amdhsa_next_free_vgpr 54
		.amdhsa_next_free_sgpr 50
		.amdhsa_named_barrier_count 0
		.amdhsa_reserve_vcc 1
		.amdhsa_float_round_mode_32 0
		.amdhsa_float_round_mode_16_64 0
		.amdhsa_float_denorm_mode_32 3
		.amdhsa_float_denorm_mode_16_64 3
		.amdhsa_fp16_overflow 0
		.amdhsa_memory_ordered 1
		.amdhsa_forward_progress 1
		.amdhsa_inst_pref_size 24
		.amdhsa_round_robin_scheduling 0
		.amdhsa_exception_fp_ieee_invalid_op 0
		.amdhsa_exception_fp_denorm_src 0
		.amdhsa_exception_fp_ieee_div_zero 0
		.amdhsa_exception_fp_ieee_overflow 0
		.amdhsa_exception_fp_ieee_underflow 0
		.amdhsa_exception_fp_ieee_inexact 0
		.amdhsa_exception_int_div_zero 0
	.end_amdhsa_kernel
	.section	.text._ZL29rocblas_trtri_diagonal_kernelILi16EdPKPKdPKPdEv13rocblas_fill_17rocblas_diagonal_iT1_lillT2_lilli,"axG",@progbits,_ZL29rocblas_trtri_diagonal_kernelILi16EdPKPKdPKPdEv13rocblas_fill_17rocblas_diagonal_iT1_lillT2_lilli,comdat
.Lfunc_end22:
	.size	_ZL29rocblas_trtri_diagonal_kernelILi16EdPKPKdPKPdEv13rocblas_fill_17rocblas_diagonal_iT1_lillT2_lilli, .Lfunc_end22-_ZL29rocblas_trtri_diagonal_kernelILi16EdPKPKdPKPdEv13rocblas_fill_17rocblas_diagonal_iT1_lillT2_lilli
                                        ; -- End function
	.set _ZL29rocblas_trtri_diagonal_kernelILi16EdPKPKdPKPdEv13rocblas_fill_17rocblas_diagonal_iT1_lillT2_lilli.num_vgpr, 54
	.set _ZL29rocblas_trtri_diagonal_kernelILi16EdPKPKdPKPdEv13rocblas_fill_17rocblas_diagonal_iT1_lillT2_lilli.num_agpr, 0
	.set _ZL29rocblas_trtri_diagonal_kernelILi16EdPKPKdPKPdEv13rocblas_fill_17rocblas_diagonal_iT1_lillT2_lilli.numbered_sgpr, 50
	.set _ZL29rocblas_trtri_diagonal_kernelILi16EdPKPKdPKPdEv13rocblas_fill_17rocblas_diagonal_iT1_lillT2_lilli.num_named_barrier, 0
	.set _ZL29rocblas_trtri_diagonal_kernelILi16EdPKPKdPKPdEv13rocblas_fill_17rocblas_diagonal_iT1_lillT2_lilli.private_seg_size, 0
	.set _ZL29rocblas_trtri_diagonal_kernelILi16EdPKPKdPKPdEv13rocblas_fill_17rocblas_diagonal_iT1_lillT2_lilli.uses_vcc, 1
	.set _ZL29rocblas_trtri_diagonal_kernelILi16EdPKPKdPKPdEv13rocblas_fill_17rocblas_diagonal_iT1_lillT2_lilli.uses_flat_scratch, 0
	.set _ZL29rocblas_trtri_diagonal_kernelILi16EdPKPKdPKPdEv13rocblas_fill_17rocblas_diagonal_iT1_lillT2_lilli.has_dyn_sized_stack, 0
	.set _ZL29rocblas_trtri_diagonal_kernelILi16EdPKPKdPKPdEv13rocblas_fill_17rocblas_diagonal_iT1_lillT2_lilli.has_recursion, 0
	.set _ZL29rocblas_trtri_diagonal_kernelILi16EdPKPKdPKPdEv13rocblas_fill_17rocblas_diagonal_iT1_lillT2_lilli.has_indirect_call, 0
	.section	.AMDGPU.csdata,"",@progbits
; Kernel info:
; codeLenInByte = 2960
; TotalNumSgprs: 52
; NumVgprs: 54
; ScratchSize: 0
; MemoryBound: 0
; FloatMode: 240
; IeeeMode: 1
; LDSByteSize: 8192 bytes/workgroup (compile time only)
; SGPRBlocks: 0
; VGPRBlocks: 3
; NumSGPRsForWavesPerEU: 52
; NumVGPRsForWavesPerEU: 54
; NamedBarCnt: 0
; Occupancy: 16
; WaveLimiterHint : 1
; COMPUTE_PGM_RSRC2:SCRATCH_EN: 0
; COMPUTE_PGM_RSRC2:USER_SGPR: 2
; COMPUTE_PGM_RSRC2:TRAP_HANDLER: 0
; COMPUTE_PGM_RSRC2:TGID_X_EN: 1
; COMPUTE_PGM_RSRC2:TGID_Y_EN: 0
; COMPUTE_PGM_RSRC2:TGID_Z_EN: 1
; COMPUTE_PGM_RSRC2:TIDIG_COMP_CNT: 0
	.section	.text._ZL30rocblas_trtri_remainder_kernelILi16EdPKPKdPKPdEv13rocblas_fill_17rocblas_diagonal_iT1_lillT2_lilli,"axG",@progbits,_ZL30rocblas_trtri_remainder_kernelILi16EdPKPKdPKPdEv13rocblas_fill_17rocblas_diagonal_iT1_lillT2_lilli,comdat
	.globl	_ZL30rocblas_trtri_remainder_kernelILi16EdPKPKdPKPdEv13rocblas_fill_17rocblas_diagonal_iT1_lillT2_lilli ; -- Begin function _ZL30rocblas_trtri_remainder_kernelILi16EdPKPKdPKPdEv13rocblas_fill_17rocblas_diagonal_iT1_lillT2_lilli
	.p2align	8
	.type	_ZL30rocblas_trtri_remainder_kernelILi16EdPKPKdPKPdEv13rocblas_fill_17rocblas_diagonal_iT1_lillT2_lilli,@function
_ZL30rocblas_trtri_remainder_kernelILi16EdPKPKdPKPdEv13rocblas_fill_17rocblas_diagonal_iT1_lillT2_lilli: ; @_ZL30rocblas_trtri_remainder_kernelILi16EdPKPKdPKPdEv13rocblas_fill_17rocblas_diagonal_iT1_lillT2_lilli
; %bb.0:
	s_load_b32 s15, s[0:1], 0x60
	s_bfe_u32 s2, ttmp6, 0x40014
	s_lshr_b32 s3, ttmp7, 16
	s_add_co_i32 s2, s2, 1
	s_bfe_u32 s4, ttmp6, 0x40008
	s_mul_i32 s2, s3, s2
	s_getreg_b32 s19, hwreg(HW_REG_IB_STS2, 6, 4)
	s_add_co_i32 s4, s4, s2
	s_cmp_eq_u32 s19, 0
	s_cselect_b32 s2, s3, s4
	s_mov_b32 s3, 0
	s_wait_kmcnt 0x0
	s_cmp_ge_u32 s2, s15
	s_cbranch_scc1 .LBB23_38
; %bb.1:
	s_clause 0x5
	s_load_b32 s20, s[0:1], 0x20
	s_load_b96 s[16:18], s[0:1], 0x40
	s_load_b96 s[12:14], s[0:1], 0x0
	s_load_b128 s[4:7], s[0:1], 0x30
	s_load_b128 s[8:11], s[0:1], 0x10
	s_load_b64 s[22:23], s[0:1], 0x58
	s_wait_xcnt 0x0
	s_bfe_u32 s1, ttmp6, 0x4000c
	s_and_b32 s0, ttmp6, 15
	s_add_co_i32 s1, s1, 1
	s_mov_b32 s25, s3
	s_mul_i32 s1, ttmp9, s1
	s_mov_b32 s31, s3
	s_add_co_i32 s1, s0, s1
	v_dual_add_nc_u32 v17, 1, v0 :: v_dual_lshlrev_b32 v4, 3, v0
	s_wait_kmcnt 0x0
	s_ashr_i32 s21, s20, 31
	s_ashr_i32 s35, s18, 31
	s_cmp_eq_u32 s19, 0
	s_mov_b32 s34, s18
	s_cselect_b32 s24, ttmp9, s1
	s_cmp_gt_i32 s14, 0
	s_mul_u64 s[4:5], s[4:5], s[24:25]
	s_cselect_b32 s1, -1, 0
	s_cmp_lg_u32 s12, 0x7a
	v_mul_lo_u32 v2, v0, s14
	s_cselect_b32 s26, -1, 0
	s_add_co_i32 s30, s14, -1
	s_delay_alu instid0(SALU_CYCLE_1)
	v_dual_mov_b32 v3, 0 :: v_dual_sub_nc_u32 v1, s30, v0
	s_cmp_lg_u32 s13, 0x84
	s_mul_u64 s[12:13], s[20:21], s[30:31]
	s_cselect_b32 s27, -1, 0
	s_lshl_b64 s[4:5], s[4:5], 3
	s_lshl_b64 s[12:13], s[12:13], 3
	v_dual_lshlrev_b32 v1, 3, v1 :: v_dual_mov_b32 v5, v3
	s_add_nc_u64 s[12:13], s[4:5], s[12:13]
	s_lshl_b64 s[10:11], s[10:11], 3
	s_mul_u64 s[18:19], s[22:23], s[24:25]
	s_add_nc_u64 s[12:13], s[12:13], s[10:11]
	s_lshl_b64 s[18:19], s[18:19], 3
	v_add_nc_u64_e32 v[6:7], s[12:13], v[4:5]
	s_lshl_b64 s[12:13], s[20:21], 3
	s_mul_u64 s[20:21], s[34:35], s[30:31]
	s_lshl_b64 s[16:17], s[16:17], 3
	s_lshl_b64 s[22:23], s[20:21], 3
	s_lshl_b32 s28, s14, 3
	s_add_nc_u64 s[22:23], s[18:19], s[22:23]
	v_cmp_gt_u32_e64 s0, s14, v0
	s_add_nc_u64 s[22:23], s[22:23], s[16:17]
	v_add_lshl_u32 v16, v2, v0, 3
	v_add_nc_u64_e32 v[8:9], s[22:23], v[4:5]
	v_add_nc_u32_e32 v18, s28, v4
	v_lshlrev_b32_e32 v2, 3, v0
	s_lshl_b64 s[22:23], s[34:35], 3
	s_sub_nc_u64 s[20:21], 0, s[12:13]
	s_add_co_i32 s29, s28, 8
	s_sub_nc_u64 s[24:25], 0, s[22:23]
	s_branch .LBB23_4
.LBB23_2:                               ;   in Loop: Header=BB23_4 Depth=1
	s_or_b32 exec_lo, exec_lo, s30
.LBB23_3:                               ;   in Loop: Header=BB23_4 Depth=1
	s_add_co_i32 s2, s2, 0x10000
	s_delay_alu instid0(SALU_CYCLE_1)
	s_cmp_lt_u32 s2, s15
	s_cbranch_scc0 .LBB23_38
.LBB23_4:                               ; =>This Loop Header: Depth=1
                                        ;     Child Loop BB23_8 Depth 2
                                        ;     Child Loop BB23_12 Depth 2
	;; [unrolled: 1-line block ×3, first 2 shown]
                                        ;       Child Loop BB23_26 Depth 3
                                        ;     Child Loop BB23_33 Depth 2
                                        ;     Child Loop BB23_37 Depth 2
	s_and_not1_b32 vcc_lo, exec_lo, s1
	s_cbranch_vccnz .LBB23_3
; %bb.5:                                ;   in Loop: Header=BB23_4 Depth=1
	v_mov_b32_e32 v5, s2
	global_load_b64 v[10:11], v5, s[6:7] scale_offset
	s_wait_xcnt 0x0
	s_and_saveexec_b32 s30, s0
	s_cbranch_execz .LBB23_13
; %bb.6:                                ;   in Loop: Header=BB23_4 Depth=1
	s_lshl_b64 s[34:35], s[2:3], 3
	s_and_not1_b32 vcc_lo, exec_lo, s26
	s_add_nc_u64 s[34:35], s[8:9], s[34:35]
	s_mov_b32 s31, -1
	global_load_b64 v[12:13], v3, s[34:35]
	s_cbranch_vccnz .LBB23_10
; %bb.7:                                ;   in Loop: Header=BB23_4 Depth=1
	s_wait_loadcnt 0x0
	v_add_nc_u64_e32 v[14:15], v[12:13], v[6:7]
	v_mov_b32_e32 v5, v1
	s_mov_b32 s31, 0
	s_mov_b32 s33, s14
.LBB23_8:                               ;   Parent Loop BB23_4 Depth=1
                                        ; =>  This Inner Loop Header: Depth=2
	flat_load_b64 v[20:21], v[14:15]
	s_add_co_i32 s33, s33, -1
	s_wait_xcnt 0x0
	v_add_nc_u64_e32 v[14:15], s[20:21], v[14:15]
	v_cmp_le_u32_e32 vcc_lo, s33, v0
	s_or_b32 s31, vcc_lo, s31
	s_wait_loadcnt_dscnt 0x0
	ds_store_b64 v5, v[20:21]
	v_add_nc_u32_e32 v5, s28, v5
	s_and_not1_b32 exec_lo, exec_lo, s31
	s_cbranch_execnz .LBB23_8
; %bb.9:                                ;   in Loop: Header=BB23_4 Depth=1
	s_or_b32 exec_lo, exec_lo, s31
	s_mov_b32 s31, 0
.LBB23_10:                              ;   in Loop: Header=BB23_4 Depth=1
	s_delay_alu instid0(SALU_CYCLE_1)
	s_and_b32 vcc_lo, exec_lo, s31
	s_cbranch_vccz .LBB23_13
; %bb.11:                               ;   in Loop: Header=BB23_4 Depth=1
	s_wait_loadcnt 0x0
	v_add_nc_u64_e32 v[12:13], s[10:11], v[12:13]
	v_dual_mov_b32 v5, v4 :: v_dual_mov_b32 v14, v17
	s_mov_b32 s31, 0
	s_delay_alu instid0(VALU_DEP_2) | instskip(NEXT) | instid1(VALU_DEP_1)
	v_add_nc_u64_e32 v[12:13], s[4:5], v[12:13]
	v_add_nc_u64_e32 v[12:13], v[12:13], v[2:3]
.LBB23_12:                              ;   Parent Loop BB23_4 Depth=1
                                        ; =>  This Inner Loop Header: Depth=2
	flat_load_b64 v[20:21], v[12:13]
	v_add_nc_u32_e32 v14, -1, v14
	s_wait_xcnt 0x0
	v_add_nc_u64_e32 v[12:13], s[12:13], v[12:13]
	s_wait_loadcnt_dscnt 0x0
	ds_store_b64 v5, v[20:21]
	v_add_nc_u32_e32 v5, s28, v5
	v_cmp_eq_u32_e32 vcc_lo, 0, v14
	s_or_b32 s31, vcc_lo, s31
	s_delay_alu instid0(SALU_CYCLE_1)
	s_and_not1_b32 exec_lo, exec_lo, s31
	s_cbranch_execnz .LBB23_12
.LBB23_13:                              ;   in Loop: Header=BB23_4 Depth=1
	s_wait_xcnt 0x0
	s_or_b32 exec_lo, exec_lo, s30
	s_wait_loadcnt_dscnt 0x0
	s_barrier_signal -1
	s_barrier_wait -1
	s_and_saveexec_b32 s30, s0
	s_cbranch_execz .LBB23_19
; %bb.14:                               ;   in Loop: Header=BB23_4 Depth=1
	v_mov_b64_e32 v[14:15], 1.0
	s_and_not1_b32 vcc_lo, exec_lo, s27
	s_cbranch_vccnz .LBB23_18
; %bb.15:                               ;   in Loop: Header=BB23_4 Depth=1
	ds_load_b64 v[12:13], v16
	v_mov_b64_e32 v[14:15], 1.0
	s_mov_b32 s31, exec_lo
	s_wait_dscnt 0x0
	v_cmpx_neq_f64_e32 0, v[12:13]
	s_cbranch_execz .LBB23_17
; %bb.16:                               ;   in Loop: Header=BB23_4 Depth=1
	v_div_scale_f64 v[14:15], null, v[12:13], v[12:13], 1.0
	s_delay_alu instid0(VALU_DEP_1) | instskip(SKIP_1) | instid1(TRANS32_DEP_1)
	v_rcp_f64_e32 v[20:21], v[14:15]
	v_nop
	v_fma_f64 v[22:23], -v[14:15], v[20:21], 1.0
	s_delay_alu instid0(VALU_DEP_1) | instskip(NEXT) | instid1(VALU_DEP_1)
	v_fmac_f64_e32 v[20:21], v[20:21], v[22:23]
	v_fma_f64 v[22:23], -v[14:15], v[20:21], 1.0
	s_delay_alu instid0(VALU_DEP_1) | instskip(SKIP_1) | instid1(VALU_DEP_1)
	v_fmac_f64_e32 v[20:21], v[20:21], v[22:23]
	v_div_scale_f64 v[22:23], vcc_lo, 1.0, v[12:13], 1.0
	v_mul_f64_e32 v[24:25], v[22:23], v[20:21]
	s_delay_alu instid0(VALU_DEP_1) | instskip(NEXT) | instid1(VALU_DEP_1)
	v_fma_f64 v[14:15], -v[14:15], v[24:25], v[22:23]
	v_div_fmas_f64 v[14:15], v[14:15], v[20:21], v[24:25]
	s_delay_alu instid0(VALU_DEP_1)
	v_div_fixup_f64 v[14:15], v[14:15], v[12:13], 1.0
.LBB23_17:                              ;   in Loop: Header=BB23_4 Depth=1
	s_or_b32 exec_lo, exec_lo, s31
.LBB23_18:                              ;   in Loop: Header=BB23_4 Depth=1
	ds_store_b64 v16, v[14:15]
.LBB23_19:                              ;   in Loop: Header=BB23_4 Depth=1
	s_or_b32 exec_lo, exec_lo, s30
	v_mov_b32_e32 v5, v18
	s_mov_b32 s30, 0
	s_mov_b32 s31, 8
	s_wait_dscnt 0x0
	s_barrier_signal -1
	s_barrier_wait -1
	s_branch .LBB23_21
.LBB23_20:                              ;   in Loop: Header=BB23_21 Depth=2
	v_add_nc_u32_e32 v5, s28, v5
	s_add_co_i32 s31, s31, s29
	s_cmp_eq_u32 s30, s14
	s_barrier_signal -1
	s_barrier_wait -1
	s_cbranch_scc1 .LBB23_30
.LBB23_21:                              ;   Parent Loop BB23_4 Depth=1
                                        ; =>  This Loop Header: Depth=2
                                        ;       Child Loop BB23_26 Depth 3
	v_mov_b64_e32 v[12:13], 0
	s_mul_i32 s33, s30, s14
	s_mov_b32 s34, exec_lo
	v_cmpx_lt_u32_e64 s30, v0
	s_cbranch_execz .LBB23_23
; %bb.22:                               ;   in Loop: Header=BB23_21 Depth=2
	s_lshl_b32 s35, s30, 3
	s_lshl_b32 s36, s33, 3
	s_delay_alu instid0(SALU_CYCLE_1) | instskip(NEXT) | instid1(SALU_CYCLE_1)
	s_add_co_i32 s35, s35, s36
	v_dual_add_nc_u32 v12, s36, v4 :: v_dual_mov_b32 v14, s35
	ds_load_b64 v[12:13], v12
	ds_load_b64 v[14:15], v14
	s_wait_dscnt 0x0
	v_fma_f64 v[12:13], v[12:13], v[14:15], 0
.LBB23_23:                              ;   in Loop: Header=BB23_21 Depth=2
	s_or_b32 exec_lo, exec_lo, s34
	s_add_co_i32 s30, s30, 1
	s_delay_alu instid0(SALU_CYCLE_1)
	s_cmp_ge_i32 s30, s14
	s_barrier_signal -1
	s_barrier_wait -1
	s_cbranch_scc1 .LBB23_20
; %bb.24:                               ;   in Loop: Header=BB23_21 Depth=2
	v_lshl_add_u32 v14, s33, 3, v4
	v_mov_b32_e32 v15, v5
	s_mov_b32 s33, s31
	s_mov_b32 s34, s30
	s_branch .LBB23_26
.LBB23_25:                              ;   in Loop: Header=BB23_26 Depth=3
	s_or_b32 exec_lo, exec_lo, s35
	v_add_nc_u32_e32 v15, s28, v15
	s_add_co_i32 s34, s34, 1
	s_add_co_i32 s33, s33, 8
	s_cmp_eq_u32 s14, s34
	s_barrier_signal -1
	s_barrier_wait -1
	s_cbranch_scc1 .LBB23_20
.LBB23_26:                              ;   Parent Loop BB23_4 Depth=1
                                        ;     Parent Loop BB23_21 Depth=2
                                        ; =>    This Inner Loop Header: Depth=3
	s_mov_b32 s35, exec_lo
	v_cmpx_eq_u32_e64 s34, v0
	s_cbranch_execz .LBB23_28
; %bb.27:                               ;   in Loop: Header=BB23_26 Depth=3
	s_delay_alu instid0(VALU_DEP_3)
	v_add_f64_e64 v[20:21], -v[12:13], 0
	ds_load_b64 v[22:23], v16
	s_wait_dscnt 0x0
	v_mul_f64_e32 v[20:21], v[20:21], v[22:23]
	ds_store_b64 v14, v[20:21]
.LBB23_28:                              ;   in Loop: Header=BB23_26 Depth=3
	s_or_b32 exec_lo, exec_lo, s35
	s_delay_alu instid0(SALU_CYCLE_1)
	s_mov_b32 s35, exec_lo
	s_wait_dscnt 0x0
	s_barrier_signal -1
	s_barrier_wait -1
	v_cmpx_lt_u32_e64 s34, v0
	s_cbranch_execz .LBB23_25
; %bb.29:                               ;   in Loop: Header=BB23_26 Depth=3
	v_mov_b32_e32 v19, s33
	ds_load_b64 v[20:21], v15
	ds_load_b64 v[22:23], v19
	s_wait_dscnt 0x0
	v_fmac_f64_e32 v[12:13], v[20:21], v[22:23]
	s_branch .LBB23_25
.LBB23_30:                              ;   in Loop: Header=BB23_4 Depth=1
	s_and_saveexec_b32 s30, s0
	s_cbranch_execz .LBB23_2
; %bb.31:                               ;   in Loop: Header=BB23_4 Depth=1
	s_and_not1_b32 vcc_lo, exec_lo, s26
	s_mov_b32 s31, -1
	s_cbranch_vccnz .LBB23_35
; %bb.32:                               ;   in Loop: Header=BB23_4 Depth=1
	v_add_nc_u64_e32 v[12:13], v[10:11], v[8:9]
	v_mov_b32_e32 v5, v1
	s_mov_b32 s31, 0
	s_mov_b32 s33, s14
.LBB23_33:                              ;   Parent Loop BB23_4 Depth=1
                                        ; =>  This Inner Loop Header: Depth=2
	ds_load_b64 v[14:15], v5
	s_add_co_i32 s33, s33, -1
	v_add_nc_u32_e32 v5, s28, v5
	v_cmp_le_u32_e32 vcc_lo, s33, v0
	s_or_b32 s31, vcc_lo, s31
	s_wait_dscnt 0x0
	flat_store_b64 v[12:13], v[14:15]
	s_wait_xcnt 0x0
	v_add_nc_u64_e32 v[12:13], s[24:25], v[12:13]
	s_and_not1_b32 exec_lo, exec_lo, s31
	s_cbranch_execnz .LBB23_33
; %bb.34:                               ;   in Loop: Header=BB23_4 Depth=1
	s_or_b32 exec_lo, exec_lo, s31
	s_mov_b32 s31, 0
.LBB23_35:                              ;   in Loop: Header=BB23_4 Depth=1
	s_delay_alu instid0(SALU_CYCLE_1)
	s_and_b32 vcc_lo, exec_lo, s31
	s_cbranch_vccz .LBB23_2
; %bb.36:                               ;   in Loop: Header=BB23_4 Depth=1
	v_add_nc_u64_e32 v[10:11], s[16:17], v[10:11]
	v_dual_mov_b32 v5, v4 :: v_dual_mov_b32 v12, v17
	s_mov_b32 s31, 0
	s_delay_alu instid0(VALU_DEP_2) | instskip(NEXT) | instid1(VALU_DEP_1)
	v_add_nc_u64_e32 v[10:11], s[18:19], v[10:11]
	v_add_nc_u64_e32 v[10:11], v[10:11], v[2:3]
.LBB23_37:                              ;   Parent Loop BB23_4 Depth=1
                                        ; =>  This Inner Loop Header: Depth=2
	ds_load_b64 v[14:15], v5
	v_dual_add_nc_u32 v12, -1, v12 :: v_dual_add_nc_u32 v5, s28, v5
	s_delay_alu instid0(VALU_DEP_1)
	v_cmp_eq_u32_e32 vcc_lo, 0, v12
	s_or_b32 s31, vcc_lo, s31
	s_wait_dscnt 0x0
	flat_store_b64 v[10:11], v[14:15]
	s_wait_xcnt 0x0
	v_add_nc_u64_e32 v[10:11], s[22:23], v[10:11]
	s_and_not1_b32 exec_lo, exec_lo, s31
	s_cbranch_execnz .LBB23_37
	s_branch .LBB23_2
.LBB23_38:
	s_endpgm
	.section	.rodata,"a",@progbits
	.p2align	6, 0x0
	.amdhsa_kernel _ZL30rocblas_trtri_remainder_kernelILi16EdPKPKdPKPdEv13rocblas_fill_17rocblas_diagonal_iT1_lillT2_lilli
		.amdhsa_group_segment_fixed_size 8192
		.amdhsa_private_segment_fixed_size 0
		.amdhsa_kernarg_size 100
		.amdhsa_user_sgpr_count 2
		.amdhsa_user_sgpr_dispatch_ptr 0
		.amdhsa_user_sgpr_queue_ptr 0
		.amdhsa_user_sgpr_kernarg_segment_ptr 1
		.amdhsa_user_sgpr_dispatch_id 0
		.amdhsa_user_sgpr_kernarg_preload_length 0
		.amdhsa_user_sgpr_kernarg_preload_offset 0
		.amdhsa_user_sgpr_private_segment_size 0
		.amdhsa_wavefront_size32 1
		.amdhsa_uses_dynamic_stack 0
		.amdhsa_enable_private_segment 0
		.amdhsa_system_sgpr_workgroup_id_x 1
		.amdhsa_system_sgpr_workgroup_id_y 0
		.amdhsa_system_sgpr_workgroup_id_z 1
		.amdhsa_system_sgpr_workgroup_info 0
		.amdhsa_system_vgpr_workitem_id 0
		.amdhsa_next_free_vgpr 26
		.amdhsa_next_free_sgpr 37
		.amdhsa_named_barrier_count 0
		.amdhsa_reserve_vcc 1
		.amdhsa_float_round_mode_32 0
		.amdhsa_float_round_mode_16_64 0
		.amdhsa_float_denorm_mode_32 3
		.amdhsa_float_denorm_mode_16_64 3
		.amdhsa_fp16_overflow 0
		.amdhsa_memory_ordered 1
		.amdhsa_forward_progress 1
		.amdhsa_inst_pref_size 11
		.amdhsa_round_robin_scheduling 0
		.amdhsa_exception_fp_ieee_invalid_op 0
		.amdhsa_exception_fp_denorm_src 0
		.amdhsa_exception_fp_ieee_div_zero 0
		.amdhsa_exception_fp_ieee_overflow 0
		.amdhsa_exception_fp_ieee_underflow 0
		.amdhsa_exception_fp_ieee_inexact 0
		.amdhsa_exception_int_div_zero 0
	.end_amdhsa_kernel
	.section	.text._ZL30rocblas_trtri_remainder_kernelILi16EdPKPKdPKPdEv13rocblas_fill_17rocblas_diagonal_iT1_lillT2_lilli,"axG",@progbits,_ZL30rocblas_trtri_remainder_kernelILi16EdPKPKdPKPdEv13rocblas_fill_17rocblas_diagonal_iT1_lillT2_lilli,comdat
.Lfunc_end23:
	.size	_ZL30rocblas_trtri_remainder_kernelILi16EdPKPKdPKPdEv13rocblas_fill_17rocblas_diagonal_iT1_lillT2_lilli, .Lfunc_end23-_ZL30rocblas_trtri_remainder_kernelILi16EdPKPKdPKPdEv13rocblas_fill_17rocblas_diagonal_iT1_lillT2_lilli
                                        ; -- End function
	.set _ZL30rocblas_trtri_remainder_kernelILi16EdPKPKdPKPdEv13rocblas_fill_17rocblas_diagonal_iT1_lillT2_lilli.num_vgpr, 26
	.set _ZL30rocblas_trtri_remainder_kernelILi16EdPKPKdPKPdEv13rocblas_fill_17rocblas_diagonal_iT1_lillT2_lilli.num_agpr, 0
	.set _ZL30rocblas_trtri_remainder_kernelILi16EdPKPKdPKPdEv13rocblas_fill_17rocblas_diagonal_iT1_lillT2_lilli.numbered_sgpr, 37
	.set _ZL30rocblas_trtri_remainder_kernelILi16EdPKPKdPKPdEv13rocblas_fill_17rocblas_diagonal_iT1_lillT2_lilli.num_named_barrier, 0
	.set _ZL30rocblas_trtri_remainder_kernelILi16EdPKPKdPKPdEv13rocblas_fill_17rocblas_diagonal_iT1_lillT2_lilli.private_seg_size, 0
	.set _ZL30rocblas_trtri_remainder_kernelILi16EdPKPKdPKPdEv13rocblas_fill_17rocblas_diagonal_iT1_lillT2_lilli.uses_vcc, 1
	.set _ZL30rocblas_trtri_remainder_kernelILi16EdPKPKdPKPdEv13rocblas_fill_17rocblas_diagonal_iT1_lillT2_lilli.uses_flat_scratch, 0
	.set _ZL30rocblas_trtri_remainder_kernelILi16EdPKPKdPKPdEv13rocblas_fill_17rocblas_diagonal_iT1_lillT2_lilli.has_dyn_sized_stack, 0
	.set _ZL30rocblas_trtri_remainder_kernelILi16EdPKPKdPKPdEv13rocblas_fill_17rocblas_diagonal_iT1_lillT2_lilli.has_recursion, 0
	.set _ZL30rocblas_trtri_remainder_kernelILi16EdPKPKdPKPdEv13rocblas_fill_17rocblas_diagonal_iT1_lillT2_lilli.has_indirect_call, 0
	.section	.AMDGPU.csdata,"",@progbits
; Kernel info:
; codeLenInByte = 1388
; TotalNumSgprs: 39
; NumVgprs: 26
; ScratchSize: 0
; MemoryBound: 0
; FloatMode: 240
; IeeeMode: 1
; LDSByteSize: 8192 bytes/workgroup (compile time only)
; SGPRBlocks: 0
; VGPRBlocks: 1
; NumSGPRsForWavesPerEU: 39
; NumVGPRsForWavesPerEU: 26
; NamedBarCnt: 0
; Occupancy: 16
; WaveLimiterHint : 0
; COMPUTE_PGM_RSRC2:SCRATCH_EN: 0
; COMPUTE_PGM_RSRC2:USER_SGPR: 2
; COMPUTE_PGM_RSRC2:TRAP_HANDLER: 0
; COMPUTE_PGM_RSRC2:TGID_X_EN: 1
; COMPUTE_PGM_RSRC2:TGID_Y_EN: 0
; COMPUTE_PGM_RSRC2:TGID_Z_EN: 1
; COMPUTE_PGM_RSRC2:TIDIG_COMP_CNT: 0
	.section	.text._ZL18rocblas_trtri_fillILi128E19rocblas_complex_numIfEPKPS1_EvP15_rocblas_handle13rocblas_fill_ililT1_llii,"axG",@progbits,_ZL18rocblas_trtri_fillILi128E19rocblas_complex_numIfEPKPS1_EvP15_rocblas_handle13rocblas_fill_ililT1_llii,comdat
	.globl	_ZL18rocblas_trtri_fillILi128E19rocblas_complex_numIfEPKPS1_EvP15_rocblas_handle13rocblas_fill_ililT1_llii ; -- Begin function _ZL18rocblas_trtri_fillILi128E19rocblas_complex_numIfEPKPS1_EvP15_rocblas_handle13rocblas_fill_ililT1_llii
	.p2align	8
	.type	_ZL18rocblas_trtri_fillILi128E19rocblas_complex_numIfEPKPS1_EvP15_rocblas_handle13rocblas_fill_ililT1_llii,@function
_ZL18rocblas_trtri_fillILi128E19rocblas_complex_numIfEPKPS1_EvP15_rocblas_handle13rocblas_fill_ililT1_llii: ; @_ZL18rocblas_trtri_fillILi128E19rocblas_complex_numIfEPKPS1_EvP15_rocblas_handle13rocblas_fill_ililT1_llii
; %bb.0:
	s_load_b64 s[2:3], s[0:1], 0x40
	s_bfe_u32 s4, ttmp6, 0x40014
	s_lshr_b32 s5, ttmp7, 16
	s_add_co_i32 s4, s4, 1
	s_bfe_u32 s6, ttmp6, 0x40008
	s_mul_i32 s4, s5, s4
	s_getreg_b32 s8, hwreg(HW_REG_IB_STS2, 6, 4)
	s_add_co_i32 s6, s6, s4
	s_cmp_eq_u32 s8, 0
	s_mov_b32 s13, 0
	s_cselect_b32 s33, s5, s6
	s_wait_kmcnt 0x0
	s_cmp_ge_u32 s33, s3
	s_cbranch_scc1 .LBB24_19
; %bb.1:
	s_clause 0x1
	s_load_b32 s14, s[0:1], 0x18
	s_load_b128 s[4:7], s[0:1], 0x8
	s_bfe_u32 s9, ttmp6, 0x4000c
	s_and_b32 s10, ttmp6, 15
	s_add_co_i32 s9, s9, 1
	s_add_nc_u64 s[24:25], s[0:1], 0x48
	s_mul_i32 s11, ttmp9, s9
	s_ashr_i32 s9, s2, 31
	s_add_co_i32 s10, s10, s11
	s_mov_b64 s[26:27], 0xffffffff
	s_wait_kmcnt 0x0
	s_ashr_i32 s15, s14, 31
	v_cvt_f32_u32_e32 v1, s6
	s_cmp_eq_u32 s8, 0
	s_mov_b32 s8, s2
	s_cselect_b32 s12, ttmp9, s10
	s_cvt_f32_u32 s2, s6
	v_rcp_iflag_f32_e32 v1, v1
	s_lshl_b64 s[10:11], s[12:13], 7
	s_cvt_f32_u32 s12, s7
	v_or_b32_e32 v0, s10, v0
	s_add_co_i32 s10, s5, -2
	s_mul_u64 s[16:17], s[6:7], s[8:9]
	s_fmamk_f32 s2, s12, 0x4f800000, s2
	v_mul_f32_e32 v1, 0x4f7ffffe, v1
	v_cvt_f64_i32_e32 v[2:3], s10
	s_ashr_i32 s19, s5, 31
	v_s_rcp_f32 s12, s2
	s_sub_co_i32 s2, 0, s6
	v_cvt_u32_f32_e32 v5, v1
	v_mov_b32_e32 v1, s11
	s_clause 0x1
	s_load_b128 s[8:11], s[0:1], 0x20
	s_load_b64 s[30:31], s[0:1], 0x30
	s_add_co_i32 s20, s5, -1
	s_mov_b32 s18, s5
	v_mul_lo_u32 v4, s2, v5
	s_mul_f32 s12, s12, 0x5f7ffffc
	s_ashr_i32 s21, s20, 31
	v_cmp_gt_u64_e64 s2, s[16:17], v[0:1]
	s_mul_u64 s[22:23], s[20:21], s[18:19]
	s_mul_f32 s5, s12, 0x2f800000
	s_lshl_b64 s[20:21], s[22:23], 2
	s_lshr_b64 s[22:23], s[22:23], 1
	s_add_nc_u64 s[20:21], s[20:21], -7
	s_trunc_f32 s5, s5
	s_sub_nc_u64 s[34:35], 0, s[6:7]
	v_mul_hi_u32 v6, v5, v4
	v_mov_b32_e32 v4, 0
	s_wait_xcnt 0x0
	s_fmamk_f32 s0, s5, 0xcf800000, s12
	s_cvt_u32_f32 s29, s5
	s_delay_alu instid0(SALU_CYCLE_2) | instskip(SKIP_2) | instid1(VALU_DEP_2)
	s_cvt_u32_f32 s28, s0
	s_wait_kmcnt 0x0
	s_lshl_b64 s[30:31], s[30:31], 3
	v_add_nc_u32_e32 v14, v5, v6
	s_branch .LBB24_3
.LBB24_2:                               ;   in Loop: Header=BB24_3 Depth=1
	s_or_b32 exec_lo, exec_lo, s1
	s_add_co_i32 s33, s33, 0x10000
	s_delay_alu instid0(SALU_CYCLE_1)
	s_cmp_lt_u32 s33, s3
	s_cbranch_scc0 .LBB24_19
.LBB24_3:                               ; =>This Loop Header: Depth=1
                                        ;     Child Loop BB24_6 Depth 2
	s_and_saveexec_b32 s1, s2
	s_cbranch_execz .LBB24_2
; %bb.4:                                ;   in Loop: Header=BB24_3 Depth=1
	s_load_b32 s0, s[24:25], 0xc
	s_load_b64 s[36:37], s[10:11], s33 offset:0x0 scale_offset
	s_load_b32 s12, s[24:25], 0x0
	v_mov_b64_e32 v[6:7], v[0:1]
	s_mov_b32 s39, s13
	s_mov_b32 s5, 0
	s_wait_kmcnt 0x0
	s_and_b32 s38, s0, 0xffff
	s_add_nc_u64 s[36:37], s[36:37], s[30:31]
	s_mul_u64 s[38:39], s[38:39], s[12:13]
	s_branch .LBB24_6
.LBB24_5:                               ;   in Loop: Header=BB24_6 Depth=2
	v_add_nc_u64_e32 v[6:7], s[38:39], v[6:7]
	s_delay_alu instid0(VALU_DEP_1)
	v_cmp_le_u64_e32 vcc_lo, s[16:17], v[6:7]
	s_or_b32 s5, vcc_lo, s5
	s_wait_xcnt 0x0
	s_and_not1_b32 exec_lo, exec_lo, s5
	s_cbranch_execz .LBB24_2
.LBB24_6:                               ;   Parent Loop BB24_3 Depth=1
                                        ; =>  This Inner Loop Header: Depth=2
	v_or_b32_e32 v5, s7, v7
                                        ; implicit-def: $vgpr8_vgpr9
	s_mov_b32 s0, exec_lo
	s_delay_alu instid0(VALU_DEP_1)
	v_cmpx_ne_u64_e32 0, v[4:5]
	s_xor_b32 s40, exec_lo, s0
	s_cbranch_execz .LBB24_8
; %bb.7:                                ;   in Loop: Header=BB24_6 Depth=2
	s_mul_u64 s[42:43], s[34:35], s[28:29]
	v_dual_mov_b32 v8, v6 :: v_dual_mov_b32 v9, v4
	s_mul_hi_u32 s45, s28, s43
	s_mul_i32 s44, s28, s43
	s_mul_hi_u32 s12, s28, s42
	s_mul_hi_u32 s0, s29, s42
	s_add_nc_u64 s[44:45], s[12:13], s[44:45]
	s_mul_i32 s12, s29, s42
	s_mul_hi_u32 s41, s29, s43
	s_add_co_u32 s12, s44, s12
	s_add_co_ci_u32 s12, s45, s0
	s_add_co_ci_u32 s45, s41, 0
	s_mul_i32 s44, s29, s43
	v_dual_mov_b32 v10, v7 :: v_dual_mov_b32 v11, v4
	s_add_nc_u64 s[42:43], s[12:13], s[44:45]
	v_mov_b32_e32 v17, v4
	s_add_co_u32 s42, s28, s42
	s_cselect_b32 s0, -1, 0
	s_delay_alu instid0(SALU_CYCLE_1) | instskip(SKIP_1) | instid1(SALU_CYCLE_1)
	s_cmp_lg_u32 s0, 0
	s_add_co_ci_u32 s43, s29, s43
	s_mul_u64 s[44:45], s[34:35], s[42:43]
	s_delay_alu instid0(SALU_CYCLE_1)
	s_mul_hi_u32 s47, s42, s45
	s_mul_i32 s46, s42, s45
	s_mul_hi_u32 s12, s42, s44
	s_mul_i32 s41, s43, s44
	s_add_nc_u64 s[46:47], s[12:13], s[46:47]
	s_mul_hi_u32 s0, s43, s44
	s_mul_hi_u32 s48, s43, s45
	s_add_co_u32 s12, s46, s41
	s_add_co_ci_u32 s12, s47, s0
	s_mul_i32 s44, s43, s45
	s_add_co_ci_u32 s45, s48, 0
	s_delay_alu instid0(SALU_CYCLE_1) | instskip(NEXT) | instid1(SALU_CYCLE_1)
	s_add_nc_u64 s[44:45], s[12:13], s[44:45]
	s_add_co_u32 s0, s42, s44
	s_cselect_b32 s12, -1, 0
	v_mul_hi_u32 v16, v6, s0
	s_cmp_lg_u32 s12, 0
	s_add_co_ci_u32 s12, s43, s45
	s_and_b64 s[42:43], s[0:1], s[26:27]
	v_mul_u64_e32 v[8:9], s[12:13], v[8:9]
	v_mul_u64_e32 v[12:13], s[42:43], v[10:11]
	;; [unrolled: 1-line block ×3, first 2 shown]
	s_delay_alu instid0(VALU_DEP_3) | instskip(NEXT) | instid1(VALU_DEP_1)
	v_add_nc_u64_e32 v[8:9], v[16:17], v[8:9]
	v_add_co_u32 v5, vcc_lo, v8, v12
	s_delay_alu instid0(VALU_DEP_2) | instskip(NEXT) | instid1(VALU_DEP_4)
	v_add_co_ci_u32_e32 v16, vcc_lo, v9, v13, vcc_lo
	v_add_co_ci_u32_e32 v11, vcc_lo, 0, v11, vcc_lo
	s_delay_alu instid0(VALU_DEP_1) | instskip(NEXT) | instid1(VALU_DEP_1)
	v_add_nc_u64_e32 v[8:9], v[16:17], v[10:11]
	v_mul_u64_e32 v[10:11], s[6:7], v[8:9]
	v_add_nc_u64_e32 v[12:13], 2, v[8:9]
	s_delay_alu instid0(VALU_DEP_2) | instskip(NEXT) | instid1(VALU_DEP_3)
	v_sub_nc_u32_e32 v5, v7, v11
	v_sub_co_u32 v10, vcc_lo, v6, v10
	s_delay_alu instid0(VALU_DEP_1) | instskip(NEXT) | instid1(VALU_DEP_3)
	v_sub_co_ci_u32_e64 v17, null, v7, v11, vcc_lo
	v_subrev_co_ci_u32_e64 v5, null, s7, v5, vcc_lo
	s_delay_alu instid0(VALU_DEP_3) | instskip(SKIP_1) | instid1(VALU_DEP_3)
	v_sub_co_u32 v15, s0, v10, s6
	v_cmp_le_u32_e32 vcc_lo, s6, v10
	v_subrev_co_ci_u32_e64 v5, null, 0, v5, s0
	s_delay_alu instid0(VALU_DEP_3) | instskip(SKIP_2) | instid1(VALU_DEP_4)
	v_cmp_le_u32_e64 s0, s6, v15
	v_add_nc_u64_e32 v[10:11], 1, v[8:9]
	v_cndmask_b32_e64 v18, 0, -1, vcc_lo
	v_cmp_eq_u32_e32 vcc_lo, s7, v5
	s_delay_alu instid0(VALU_DEP_4) | instskip(SKIP_1) | instid1(VALU_DEP_1)
	v_cndmask_b32_e64 v15, 0, -1, s0
	v_cmp_le_u32_e64 s0, s7, v5
	v_cndmask_b32_e64 v16, 0, -1, s0
	v_cmp_eq_u32_e64 s0, s7, v17
	s_delay_alu instid0(VALU_DEP_2) | instskip(SKIP_2) | instid1(VALU_DEP_3)
	v_cndmask_b32_e32 v5, v16, v15, vcc_lo
	v_cmp_le_u32_e32 vcc_lo, s7, v17
	v_cndmask_b32_e64 v15, 0, -1, vcc_lo
	v_cmp_ne_u32_e32 vcc_lo, 0, v5
	s_delay_alu instid0(VALU_DEP_2) | instskip(SKIP_1) | instid1(VALU_DEP_2)
	v_dual_cndmask_b32 v5, v15, v18, s0 :: v_dual_cndmask_b32 v10, v10, v12, vcc_lo
	v_cndmask_b32_e32 v11, v11, v13, vcc_lo
	v_cmp_ne_u32_e32 vcc_lo, 0, v5
	s_delay_alu instid0(VALU_DEP_2)
	v_dual_cndmask_b32 v9, v9, v11 :: v_dual_cndmask_b32 v8, v8, v10
.LBB24_8:                               ;   in Loop: Header=BB24_6 Depth=2
	s_and_not1_saveexec_b32 s0, s40
	s_cbranch_execz .LBB24_10
; %bb.9:                                ;   in Loop: Header=BB24_6 Depth=2
	v_mul_hi_u32 v5, v6, v14
	s_delay_alu instid0(VALU_DEP_1) | instskip(NEXT) | instid1(VALU_DEP_1)
	v_mul_lo_u32 v8, v5, s6
	v_dual_add_nc_u32 v9, 1, v5 :: v_dual_sub_nc_u32 v8, v6, v8
	s_delay_alu instid0(VALU_DEP_1) | instskip(SKIP_1) | instid1(VALU_DEP_2)
	v_subrev_nc_u32_e32 v10, s6, v8
	v_cmp_le_u32_e32 vcc_lo, s6, v8
	v_dual_cndmask_b32 v8, v8, v10 :: v_dual_cndmask_b32 v5, v5, v9
	s_delay_alu instid0(VALU_DEP_1) | instskip(NEXT) | instid1(VALU_DEP_2)
	v_cmp_le_u32_e32 vcc_lo, s6, v8
	v_add_nc_u32_e32 v9, 1, v5
	s_delay_alu instid0(VALU_DEP_1)
	v_dual_cndmask_b32 v8, v5, v9 :: v_dual_mov_b32 v9, v4
.LBB24_10:                              ;   in Loop: Header=BB24_6 Depth=2
	s_or_b32 exec_lo, exec_lo, s0
	s_delay_alu instid0(VALU_DEP_1) | instskip(SKIP_1) | instid1(VALU_DEP_1)
	v_mul_u64_e32 v[10:11], s[6:7], v[8:9]
	s_cmp_lt_i32 s4, 0x7a
	v_sub_nc_u64_e32 v[10:11], v[6:7], v[10:11]
	s_cbranch_scc1 .LBB24_13
; %bb.11:                               ;   in Loop: Header=BB24_6 Depth=2
	s_mov_b32 s0, 0
	s_cmp_eq_u32 s4, 0x7a
	s_mov_b32 s12, 0
                                        ; implicit-def: $vgpr12_vgpr13
	s_cbranch_scc0 .LBB24_14
; %bb.12:                               ;   in Loop: Header=BB24_6 Depth=2
	s_delay_alu instid0(VALU_DEP_1) | instskip(SKIP_1) | instid1(VALU_DEP_1)
	v_lshlrev_b64_e32 v[12:13], 3, v[10:11]
	s_mov_b32 s12, -1
	v_sub_nc_u64_e32 v[12:13], s[20:21], v[12:13]
	s_delay_alu instid0(VALU_DEP_1) | instskip(NEXT) | instid1(VALU_DEP_2)
	v_cvt_f64_u32_e32 v[16:17], v13
	v_cvt_f64_u32_e32 v[12:13], v12
	s_delay_alu instid0(VALU_DEP_2) | instskip(NEXT) | instid1(VALU_DEP_1)
	v_ldexp_f64 v[16:17], v[16:17], 32
	v_add_f64_e32 v[12:13], v[16:17], v[12:13]
	s_delay_alu instid0(VALU_DEP_1) | instskip(SKIP_1) | instid1(VALU_DEP_1)
	v_cmp_gt_f64_e32 vcc_lo, 0x10000000, v[12:13]
	v_cndmask_b32_e64 v5, 0, 0x100, vcc_lo
	v_ldexp_f64 v[12:13], v[12:13], v5
	v_cndmask_b32_e64 v5, 0, 0xffffff80, vcc_lo
	s_delay_alu instid0(VALU_DEP_2) | instskip(SKIP_1) | instid1(TRANS32_DEP_1)
	v_rsq_f64_e32 v[16:17], v[12:13]
	v_cmp_class_f64_e64 vcc_lo, v[12:13], 0x260
	v_mul_f64_e32 v[18:19], v[12:13], v[16:17]
	v_mul_f64_e32 v[16:17], 0.5, v[16:17]
	s_delay_alu instid0(VALU_DEP_1) | instskip(NEXT) | instid1(VALU_DEP_1)
	v_fma_f64 v[20:21], -v[16:17], v[18:19], 0.5
	v_fmac_f64_e32 v[18:19], v[18:19], v[20:21]
	v_fmac_f64_e32 v[16:17], v[16:17], v[20:21]
	s_delay_alu instid0(VALU_DEP_2) | instskip(NEXT) | instid1(VALU_DEP_1)
	v_fma_f64 v[20:21], -v[18:19], v[18:19], v[12:13]
	v_fmac_f64_e32 v[18:19], v[20:21], v[16:17]
	s_delay_alu instid0(VALU_DEP_1) | instskip(NEXT) | instid1(VALU_DEP_1)
	v_fma_f64 v[20:21], -v[18:19], v[18:19], v[12:13]
	v_fmac_f64_e32 v[18:19], v[20:21], v[16:17]
	s_delay_alu instid0(VALU_DEP_1) | instskip(SKIP_1) | instid1(VALU_DEP_2)
	v_ldexp_f64 v[16:17], v[18:19], v5
	v_mul_u64_e32 v[18:19], s[8:9], v[8:9]
	v_dual_cndmask_b32 v13, v17, v13 :: v_dual_cndmask_b32 v12, v16, v12
	s_delay_alu instid0(VALU_DEP_2) | instskip(NEXT) | instid1(VALU_DEP_2)
	v_lshl_add_u64 v[18:19], v[18:19], 3, s[36:37]
	v_fma_f64 v[12:13], v[12:13], 0.5, -0.5
	s_delay_alu instid0(VALU_DEP_1) | instskip(NEXT) | instid1(VALU_DEP_1)
	v_floor_f64_e32 v[12:13], v[12:13]
	v_add_f64_e64 v[12:13], v[2:3], -v[12:13]
	s_delay_alu instid0(VALU_DEP_1) | instskip(NEXT) | instid1(VALU_DEP_1)
	v_trunc_f64_e32 v[12:13], v[12:13]
	v_ldexp_f64 v[16:17], v[12:13], 0xffffffe0
	s_delay_alu instid0(VALU_DEP_1) | instskip(NEXT) | instid1(VALU_DEP_1)
	v_floor_f64_e32 v[16:17], v[16:17]
	v_fmac_f64_e32 v[12:13], 0xc1f00000, v[16:17]
	s_delay_alu instid0(VALU_DEP_1) | instskip(SKIP_1) | instid1(VALU_DEP_1)
	v_cvt_u32_f64_e32 v12, v[12:13]
	v_cvt_u32_f64_e32 v13, v[16:17]
	v_sub_nc_u64_e32 v[16:17], s[18:19], v[12:13]
	v_mul_u64_e32 v[22:23], s[14:15], v[12:13]
	s_delay_alu instid0(VALU_DEP_2) | instskip(NEXT) | instid1(VALU_DEP_1)
	v_add_nc_u64_e32 v[20:21], -1, v[16:17]
	v_mul_u64_e32 v[16:17], v[20:21], v[16:17]
	v_sub_nc_u64_e64 v[20:21], v[10:11], s[22:23]
	s_delay_alu instid0(VALU_DEP_4) | instskip(NEXT) | instid1(VALU_DEP_1)
	v_lshl_add_u64 v[18:19], v[22:23], 3, v[18:19]
	v_lshl_add_u64 v[18:19], v[20:21], 3, v[18:19]
	s_delay_alu instid0(VALU_DEP_1) | instskip(SKIP_1) | instid1(VALU_DEP_1)
	v_lshl_add_u64 v[12:13], v[12:13], 3, v[18:19]
	v_lshlrev_b64_e32 v[16:17], 2, v[16:17]
	v_and_b32_e32 v16, -8, v16
	s_delay_alu instid0(VALU_DEP_1) | instskip(NEXT) | instid1(VALU_DEP_1)
	v_add_nc_u64_e32 v[16:17], v[12:13], v[16:17]
	v_add_nc_u64_e32 v[12:13], 8, v[16:17]
	flat_store_b32 v[16:17], v4 offset:8
	s_branch .LBB24_14
.LBB24_13:                              ;   in Loop: Header=BB24_6 Depth=2
	s_mov_b32 s0, -1
	s_mov_b32 s12, 0
                                        ; implicit-def: $vgpr12_vgpr13
.LBB24_14:                              ;   in Loop: Header=BB24_6 Depth=2
	s_and_b32 vcc_lo, exec_lo, s0
	s_cbranch_vccz .LBB24_17
; %bb.15:                               ;   in Loop: Header=BB24_6 Depth=2
	s_cmp_eq_u32 s4, 0x79
                                        ; implicit-def: $vgpr12_vgpr13
	s_cbranch_scc0 .LBB24_17
; %bb.16:                               ;   in Loop: Header=BB24_6 Depth=2
	v_lshlrev_b64_e32 v[12:13], 3, v[10:11]
	v_mul_u64_e32 v[8:9], s[8:9], v[8:9]
	s_mov_b32 s12, -1
	s_wait_xcnt 0x0
	s_delay_alu instid0(VALU_DEP_2) | instskip(NEXT) | instid1(VALU_DEP_3)
	v_cvt_f64_u32_e32 v[16:17], v13
	v_or_b32_e32 v5, 1, v12
	s_delay_alu instid0(VALU_DEP_1) | instskip(NEXT) | instid1(VALU_DEP_4)
	v_cvt_f64_u32_e32 v[12:13], v5
	v_lshl_add_u64 v[8:9], v[8:9], 3, s[36:37]
	s_delay_alu instid0(VALU_DEP_4) | instskip(NEXT) | instid1(VALU_DEP_1)
	v_ldexp_f64 v[16:17], v[16:17], 32
	v_add_f64_e32 v[12:13], v[16:17], v[12:13]
	s_delay_alu instid0(VALU_DEP_1) | instskip(SKIP_1) | instid1(VALU_DEP_1)
	v_cmp_gt_f64_e32 vcc_lo, 0x10000000, v[12:13]
	v_cndmask_b32_e64 v5, 0, 0x100, vcc_lo
	v_ldexp_f64 v[12:13], v[12:13], v5
	v_cndmask_b32_e64 v5, 0, 0xffffff80, vcc_lo
	s_delay_alu instid0(VALU_DEP_2) | instskip(SKIP_1) | instid1(TRANS32_DEP_1)
	v_rsq_f64_e32 v[16:17], v[12:13]
	v_cmp_class_f64_e64 vcc_lo, v[12:13], 0x260
	v_mul_f64_e32 v[18:19], v[12:13], v[16:17]
	v_mul_f64_e32 v[16:17], 0.5, v[16:17]
	s_delay_alu instid0(VALU_DEP_1) | instskip(NEXT) | instid1(VALU_DEP_1)
	v_fma_f64 v[20:21], -v[16:17], v[18:19], 0.5
	v_fmac_f64_e32 v[18:19], v[18:19], v[20:21]
	v_fmac_f64_e32 v[16:17], v[16:17], v[20:21]
	s_delay_alu instid0(VALU_DEP_2) | instskip(NEXT) | instid1(VALU_DEP_1)
	v_fma_f64 v[20:21], -v[18:19], v[18:19], v[12:13]
	v_fmac_f64_e32 v[18:19], v[20:21], v[16:17]
	s_delay_alu instid0(VALU_DEP_1) | instskip(NEXT) | instid1(VALU_DEP_1)
	v_fma_f64 v[20:21], -v[18:19], v[18:19], v[12:13]
	v_fmac_f64_e32 v[18:19], v[20:21], v[16:17]
	s_delay_alu instid0(VALU_DEP_1) | instskip(NEXT) | instid1(VALU_DEP_1)
	v_ldexp_f64 v[16:17], v[18:19], v5
	v_dual_cndmask_b32 v13, v17, v13 :: v_dual_cndmask_b32 v12, v16, v12
	s_delay_alu instid0(VALU_DEP_1) | instskip(NEXT) | instid1(VALU_DEP_1)
	v_add_f64_e32 v[12:13], -1.0, v[12:13]
	v_mul_f64_e32 v[12:13], 0.5, v[12:13]
	s_delay_alu instid0(VALU_DEP_1) | instskip(NEXT) | instid1(VALU_DEP_1)
	v_trunc_f64_e32 v[12:13], v[12:13]
	v_ldexp_f64 v[16:17], v[12:13], 0xffffffe0
	s_delay_alu instid0(VALU_DEP_1) | instskip(NEXT) | instid1(VALU_DEP_1)
	v_floor_f64_e32 v[16:17], v[16:17]
	v_fmac_f64_e32 v[12:13], 0xc1f00000, v[16:17]
	s_delay_alu instid0(VALU_DEP_1) | instskip(SKIP_1) | instid1(VALU_DEP_2)
	v_cvt_u32_f64_e32 v12, v[12:13]
	v_cvt_u32_f64_e32 v13, v[16:17]
	v_mad_nc_u64_u32 v[16:17], s14, v12, s[14:15]
	s_delay_alu instid0(VALU_DEP_2) | instskip(SKIP_1) | instid1(VALU_DEP_3)
	v_mad_nc_u64_u32 v[18:19], v12, v12, v[12:13]
	v_mul_lo_u32 v5, v12, v13
	v_mad_u32 v12, s15, v12, v17
	s_delay_alu instid0(VALU_DEP_2) | instskip(NEXT) | instid1(VALU_DEP_2)
	v_add3_u32 v19, v5, v19, v5
	v_mad_u32 v17, s14, v13, v12
	s_delay_alu instid0(VALU_DEP_2) | instskip(NEXT) | instid1(VALU_DEP_1)
	v_lshrrev_b64 v[12:13], 1, v[18:19]
	v_sub_nc_u64_e32 v[10:11], v[10:11], v[12:13]
	s_delay_alu instid0(VALU_DEP_3) | instskip(NEXT) | instid1(VALU_DEP_1)
	v_lshl_add_u64 v[8:9], v[16:17], 3, v[8:9]
	v_lshl_add_u64 v[12:13], v[10:11], 3, v[8:9]
	flat_store_b32 v[12:13], v4
.LBB24_17:                              ;   in Loop: Header=BB24_6 Depth=2
	s_and_b32 vcc_lo, exec_lo, s12
	s_cbranch_vccz .LBB24_5
; %bb.18:                               ;   in Loop: Header=BB24_6 Depth=2
	flat_store_b32 v[12:13], v4 offset:4
	s_branch .LBB24_5
.LBB24_19:
	s_endpgm
	.section	.rodata,"a",@progbits
	.p2align	6, 0x0
	.amdhsa_kernel _ZL18rocblas_trtri_fillILi128E19rocblas_complex_numIfEPKPS1_EvP15_rocblas_handle13rocblas_fill_ililT1_llii
		.amdhsa_group_segment_fixed_size 0
		.amdhsa_private_segment_fixed_size 0
		.amdhsa_kernarg_size 328
		.amdhsa_user_sgpr_count 2
		.amdhsa_user_sgpr_dispatch_ptr 0
		.amdhsa_user_sgpr_queue_ptr 0
		.amdhsa_user_sgpr_kernarg_segment_ptr 1
		.amdhsa_user_sgpr_dispatch_id 0
		.amdhsa_user_sgpr_kernarg_preload_length 0
		.amdhsa_user_sgpr_kernarg_preload_offset 0
		.amdhsa_user_sgpr_private_segment_size 0
		.amdhsa_wavefront_size32 1
		.amdhsa_uses_dynamic_stack 0
		.amdhsa_enable_private_segment 0
		.amdhsa_system_sgpr_workgroup_id_x 1
		.amdhsa_system_sgpr_workgroup_id_y 0
		.amdhsa_system_sgpr_workgroup_id_z 1
		.amdhsa_system_sgpr_workgroup_info 0
		.amdhsa_system_vgpr_workitem_id 0
		.amdhsa_next_free_vgpr 24
		.amdhsa_next_free_sgpr 49
		.amdhsa_named_barrier_count 0
		.amdhsa_reserve_vcc 1
		.amdhsa_float_round_mode_32 0
		.amdhsa_float_round_mode_16_64 0
		.amdhsa_float_denorm_mode_32 3
		.amdhsa_float_denorm_mode_16_64 3
		.amdhsa_fp16_overflow 0
		.amdhsa_memory_ordered 1
		.amdhsa_forward_progress 1
		.amdhsa_inst_pref_size 15
		.amdhsa_round_robin_scheduling 0
		.amdhsa_exception_fp_ieee_invalid_op 0
		.amdhsa_exception_fp_denorm_src 0
		.amdhsa_exception_fp_ieee_div_zero 0
		.amdhsa_exception_fp_ieee_overflow 0
		.amdhsa_exception_fp_ieee_underflow 0
		.amdhsa_exception_fp_ieee_inexact 0
		.amdhsa_exception_int_div_zero 0
	.end_amdhsa_kernel
	.section	.text._ZL18rocblas_trtri_fillILi128E19rocblas_complex_numIfEPKPS1_EvP15_rocblas_handle13rocblas_fill_ililT1_llii,"axG",@progbits,_ZL18rocblas_trtri_fillILi128E19rocblas_complex_numIfEPKPS1_EvP15_rocblas_handle13rocblas_fill_ililT1_llii,comdat
.Lfunc_end24:
	.size	_ZL18rocblas_trtri_fillILi128E19rocblas_complex_numIfEPKPS1_EvP15_rocblas_handle13rocblas_fill_ililT1_llii, .Lfunc_end24-_ZL18rocblas_trtri_fillILi128E19rocblas_complex_numIfEPKPS1_EvP15_rocblas_handle13rocblas_fill_ililT1_llii
                                        ; -- End function
	.set _ZL18rocblas_trtri_fillILi128E19rocblas_complex_numIfEPKPS1_EvP15_rocblas_handle13rocblas_fill_ililT1_llii.num_vgpr, 24
	.set _ZL18rocblas_trtri_fillILi128E19rocblas_complex_numIfEPKPS1_EvP15_rocblas_handle13rocblas_fill_ililT1_llii.num_agpr, 0
	.set _ZL18rocblas_trtri_fillILi128E19rocblas_complex_numIfEPKPS1_EvP15_rocblas_handle13rocblas_fill_ililT1_llii.numbered_sgpr, 49
	.set _ZL18rocblas_trtri_fillILi128E19rocblas_complex_numIfEPKPS1_EvP15_rocblas_handle13rocblas_fill_ililT1_llii.num_named_barrier, 0
	.set _ZL18rocblas_trtri_fillILi128E19rocblas_complex_numIfEPKPS1_EvP15_rocblas_handle13rocblas_fill_ililT1_llii.private_seg_size, 0
	.set _ZL18rocblas_trtri_fillILi128E19rocblas_complex_numIfEPKPS1_EvP15_rocblas_handle13rocblas_fill_ililT1_llii.uses_vcc, 1
	.set _ZL18rocblas_trtri_fillILi128E19rocblas_complex_numIfEPKPS1_EvP15_rocblas_handle13rocblas_fill_ililT1_llii.uses_flat_scratch, 0
	.set _ZL18rocblas_trtri_fillILi128E19rocblas_complex_numIfEPKPS1_EvP15_rocblas_handle13rocblas_fill_ililT1_llii.has_dyn_sized_stack, 0
	.set _ZL18rocblas_trtri_fillILi128E19rocblas_complex_numIfEPKPS1_EvP15_rocblas_handle13rocblas_fill_ililT1_llii.has_recursion, 0
	.set _ZL18rocblas_trtri_fillILi128E19rocblas_complex_numIfEPKPS1_EvP15_rocblas_handle13rocblas_fill_ililT1_llii.has_indirect_call, 0
	.section	.AMDGPU.csdata,"",@progbits
; Kernel info:
; codeLenInByte = 1860
; TotalNumSgprs: 51
; NumVgprs: 24
; ScratchSize: 0
; MemoryBound: 0
; FloatMode: 240
; IeeeMode: 1
; LDSByteSize: 0 bytes/workgroup (compile time only)
; SGPRBlocks: 0
; VGPRBlocks: 1
; NumSGPRsForWavesPerEU: 51
; NumVGPRsForWavesPerEU: 24
; NamedBarCnt: 0
; Occupancy: 16
; WaveLimiterHint : 1
; COMPUTE_PGM_RSRC2:SCRATCH_EN: 0
; COMPUTE_PGM_RSRC2:USER_SGPR: 2
; COMPUTE_PGM_RSRC2:TRAP_HANDLER: 0
; COMPUTE_PGM_RSRC2:TGID_X_EN: 1
; COMPUTE_PGM_RSRC2:TGID_Y_EN: 0
; COMPUTE_PGM_RSRC2:TGID_Z_EN: 1
; COMPUTE_PGM_RSRC2:TIDIG_COMP_CNT: 0
	.section	.text._ZL26rocblas_trtri_small_kernelILi16E19rocblas_complex_numIfEPKPKS1_PKPS1_Ev13rocblas_fill_17rocblas_diagonal_iT1_lillT2_lilli,"axG",@progbits,_ZL26rocblas_trtri_small_kernelILi16E19rocblas_complex_numIfEPKPKS1_PKPS1_Ev13rocblas_fill_17rocblas_diagonal_iT1_lillT2_lilli,comdat
	.globl	_ZL26rocblas_trtri_small_kernelILi16E19rocblas_complex_numIfEPKPKS1_PKPS1_Ev13rocblas_fill_17rocblas_diagonal_iT1_lillT2_lilli ; -- Begin function _ZL26rocblas_trtri_small_kernelILi16E19rocblas_complex_numIfEPKPKS1_PKPS1_Ev13rocblas_fill_17rocblas_diagonal_iT1_lillT2_lilli
	.p2align	8
	.type	_ZL26rocblas_trtri_small_kernelILi16E19rocblas_complex_numIfEPKPKS1_PKPS1_Ev13rocblas_fill_17rocblas_diagonal_iT1_lillT2_lilli,@function
_ZL26rocblas_trtri_small_kernelILi16E19rocblas_complex_numIfEPKPKS1_PKPS1_Ev13rocblas_fill_17rocblas_diagonal_iT1_lillT2_lilli: ; @_ZL26rocblas_trtri_small_kernelILi16E19rocblas_complex_numIfEPKPKS1_PKPS1_Ev13rocblas_fill_17rocblas_diagonal_iT1_lillT2_lilli
; %bb.0:
	s_load_b32 s15, s[0:1], 0x60
	s_bfe_u32 s2, ttmp6, 0x40014
	s_lshr_b32 s3, ttmp7, 16
	s_add_co_i32 s2, s2, 1
	s_bfe_u32 s4, ttmp6, 0x40008
	s_mul_i32 s2, s3, s2
	s_getreg_b32 s19, hwreg(HW_REG_IB_STS2, 6, 4)
	s_add_co_i32 s4, s4, s2
	s_cmp_eq_u32 s19, 0
	s_cselect_b32 s2, s3, s4
	s_mov_b32 s3, 0
	s_wait_kmcnt 0x0
	s_cmp_ge_u32 s2, s15
	s_cbranch_scc1 .LBB25_45
; %bb.1:
	s_clause 0x5
	s_load_b32 s20, s[0:1], 0x20
	s_load_b96 s[16:18], s[0:1], 0x40
	s_load_b96 s[12:14], s[0:1], 0x0
	s_load_b128 s[4:7], s[0:1], 0x30
	s_load_b128 s[8:11], s[0:1], 0x10
	s_load_b64 s[22:23], s[0:1], 0x58
	s_wait_xcnt 0x0
	s_bfe_u32 s1, ttmp6, 0x4000c
	s_and_b32 s0, ttmp6, 15
	s_add_co_i32 s1, s1, 1
	s_mov_b32 s25, s3
	s_mul_i32 s1, ttmp9, s1
	s_mov_b32 s31, s3
	s_add_co_i32 s1, s0, s1
	v_mov_b64_e32 v[10:11], 0x3f800000
	v_dual_add_nc_u32 v19, 1, v0 :: v_dual_lshlrev_b32 v4, 3, v0
	s_wait_kmcnt 0x0
	s_ashr_i32 s21, s20, 31
	s_ashr_i32 s35, s18, 31
	s_cmp_eq_u32 s19, 0
	s_mov_b32 s34, s18
	s_cselect_b32 s24, ttmp9, s1
	s_cmp_gt_i32 s14, 0
	s_mul_u64 s[4:5], s[4:5], s[24:25]
	s_cselect_b32 s26, -1, 0
	s_cmp_lg_u32 s12, 0x7a
	v_mul_lo_u32 v2, v0, s14
	s_cselect_b32 s27, -1, 0
	s_add_co_i32 s30, s14, -1
	s_delay_alu instid0(SALU_CYCLE_1)
	v_dual_mov_b32 v3, 0 :: v_dual_sub_nc_u32 v1, s30, v0
	s_cmp_lg_u32 s13, 0x84
	s_mul_u64 s[12:13], s[20:21], s[30:31]
	s_cselect_b32 s28, -1, 0
	s_lshl_b64 s[4:5], s[4:5], 3
	s_lshl_b64 s[12:13], s[12:13], 3
	v_dual_lshlrev_b32 v1, 3, v1 :: v_dual_mov_b32 v5, v3
	s_add_nc_u64 s[12:13], s[4:5], s[12:13]
	s_lshl_b64 s[10:11], s[10:11], 3
	s_mul_u64 s[18:19], s[22:23], s[24:25]
	s_add_nc_u64 s[12:13], s[12:13], s[10:11]
	s_lshl_b64 s[18:19], s[18:19], 3
	v_add_nc_u64_e32 v[6:7], s[12:13], v[4:5]
	s_lshl_b64 s[12:13], s[20:21], 3
	s_mul_u64 s[20:21], s[34:35], s[30:31]
	s_lshl_b64 s[16:17], s[16:17], 3
	s_lshl_b64 s[22:23], s[20:21], 3
	s_lshl_b32 s29, s14, 3
	s_add_nc_u64 s[22:23], s[18:19], s[22:23]
	v_cmp_gt_u32_e64 s0, s14, v0
	s_add_nc_u64 s[22:23], s[22:23], s[16:17]
	v_add_lshl_u32 v18, v2, v0, 3
	v_add_nc_u64_e32 v[8:9], s[22:23], v[4:5]
	v_add_nc_u32_e32 v20, s29, v4
	v_lshlrev_b32_e32 v2, 3, v0
	s_lshl_b64 s[22:23], s[34:35], 3
	s_sub_nc_u64 s[20:21], 0, s[12:13]
	s_add_co_i32 s30, s29, 8
	s_sub_nc_u64 s[24:25], 0, s[22:23]
	s_branch .LBB25_4
.LBB25_2:                               ;   in Loop: Header=BB25_4 Depth=1
	s_or_b32 exec_lo, exec_lo, s1
.LBB25_3:                               ;   in Loop: Header=BB25_4 Depth=1
	s_add_co_i32 s2, s2, 0x10000
	s_delay_alu instid0(SALU_CYCLE_1)
	s_cmp_lt_u32 s2, s15
	s_cbranch_scc0 .LBB25_45
.LBB25_4:                               ; =>This Loop Header: Depth=1
                                        ;     Child Loop BB25_8 Depth 2
                                        ;     Child Loop BB25_12 Depth 2
	;; [unrolled: 1-line block ×3, first 2 shown]
                                        ;       Child Loop BB25_33 Depth 3
                                        ;     Child Loop BB25_40 Depth 2
                                        ;     Child Loop BB25_44 Depth 2
	s_and_not1_b32 vcc_lo, exec_lo, s26
	s_cbranch_vccnz .LBB25_3
; %bb.5:                                ;   in Loop: Header=BB25_4 Depth=1
	v_mov_b32_e32 v5, s2
	global_load_b64 v[12:13], v5, s[6:7] scale_offset
	s_wait_xcnt 0x0
	s_and_saveexec_b32 s1, s0
	s_cbranch_execz .LBB25_13
; %bb.6:                                ;   in Loop: Header=BB25_4 Depth=1
	s_lshl_b64 s[34:35], s[2:3], 3
	s_and_not1_b32 vcc_lo, exec_lo, s27
	s_add_nc_u64 s[34:35], s[8:9], s[34:35]
	s_mov_b32 s31, -1
	global_load_b64 v[14:15], v3, s[34:35]
	s_cbranch_vccnz .LBB25_10
; %bb.7:                                ;   in Loop: Header=BB25_4 Depth=1
	s_wait_loadcnt 0x0
	v_add_nc_u64_e32 v[16:17], v[14:15], v[6:7]
	v_mov_b32_e32 v5, v1
	s_mov_b32 s31, 0
	s_mov_b32 s33, s14
.LBB25_8:                               ;   Parent Loop BB25_4 Depth=1
                                        ; =>  This Inner Loop Header: Depth=2
	flat_load_b64 v[22:23], v[16:17]
	s_add_co_i32 s33, s33, -1
	s_wait_xcnt 0x0
	v_add_nc_u64_e32 v[16:17], s[20:21], v[16:17]
	v_cmp_le_u32_e32 vcc_lo, s33, v0
	s_or_b32 s31, vcc_lo, s31
	s_wait_loadcnt_dscnt 0x0
	ds_store_b64 v5, v[22:23]
	v_add_nc_u32_e32 v5, s29, v5
	s_and_not1_b32 exec_lo, exec_lo, s31
	s_cbranch_execnz .LBB25_8
; %bb.9:                                ;   in Loop: Header=BB25_4 Depth=1
	s_or_b32 exec_lo, exec_lo, s31
	s_mov_b32 s31, 0
.LBB25_10:                              ;   in Loop: Header=BB25_4 Depth=1
	s_delay_alu instid0(SALU_CYCLE_1)
	s_and_b32 vcc_lo, exec_lo, s31
	s_cbranch_vccz .LBB25_13
; %bb.11:                               ;   in Loop: Header=BB25_4 Depth=1
	s_wait_loadcnt 0x0
	v_add_nc_u64_e32 v[14:15], s[10:11], v[14:15]
	v_dual_mov_b32 v5, v4 :: v_dual_mov_b32 v16, v19
	s_mov_b32 s31, 0
	s_delay_alu instid0(VALU_DEP_2) | instskip(NEXT) | instid1(VALU_DEP_1)
	v_add_nc_u64_e32 v[14:15], s[4:5], v[14:15]
	v_add_nc_u64_e32 v[14:15], v[14:15], v[2:3]
.LBB25_12:                              ;   Parent Loop BB25_4 Depth=1
                                        ; =>  This Inner Loop Header: Depth=2
	flat_load_b64 v[22:23], v[14:15]
	v_add_nc_u32_e32 v16, -1, v16
	s_wait_xcnt 0x0
	v_add_nc_u64_e32 v[14:15], s[12:13], v[14:15]
	s_wait_loadcnt_dscnt 0x0
	ds_store_b64 v5, v[22:23]
	v_add_nc_u32_e32 v5, s29, v5
	v_cmp_eq_u32_e32 vcc_lo, 0, v16
	s_or_b32 s31, vcc_lo, s31
	s_delay_alu instid0(SALU_CYCLE_1)
	s_and_not1_b32 exec_lo, exec_lo, s31
	s_cbranch_execnz .LBB25_12
.LBB25_13:                              ;   in Loop: Header=BB25_4 Depth=1
	s_wait_xcnt 0x0
	s_or_b32 exec_lo, exec_lo, s1
	; wave barrier
	s_wait_loadcnt_dscnt 0x0
	s_and_saveexec_b32 s31, s0
	s_cbranch_execz .LBB25_26
; %bb.14:                               ;   in Loop: Header=BB25_4 Depth=1
	s_and_b32 vcc_lo, exec_lo, s28
	s_mov_b32 s1, -1
	s_cbranch_vccz .LBB25_24
; %bb.15:                               ;   in Loop: Header=BB25_4 Depth=1
	ds_load_b64 v[14:15], v18
	s_wait_dscnt 0x0
	v_cmp_neq_f32_e32 vcc_lo, 0, v14
	v_cmp_neq_f32_e64 s1, 0, v15
	s_or_b32 s1, vcc_lo, s1
	s_delay_alu instid0(SALU_CYCLE_1) | instskip(NEXT) | instid1(SALU_CYCLE_1)
	s_and_saveexec_b32 s33, s1
	s_xor_b32 s1, exec_lo, s33
	s_cbranch_execz .LBB25_21
; %bb.16:                               ;   in Loop: Header=BB25_4 Depth=1
	v_cmp_ngt_f32_e64 s33, |v14|, |v15|
                                        ; implicit-def: $vgpr16_vgpr17
	s_and_saveexec_b32 s34, s33
	s_delay_alu instid0(SALU_CYCLE_1)
	s_xor_b32 s33, exec_lo, s34
	s_cbranch_execz .LBB25_18
; %bb.17:                               ;   in Loop: Header=BB25_4 Depth=1
	v_div_scale_f32 v5, null, v15, v15, v14
	v_div_scale_f32 v21, vcc_lo, v14, v15, v14
	s_delay_alu instid0(VALU_DEP_2) | instskip(SKIP_1) | instid1(TRANS32_DEP_1)
	v_rcp_f32_e32 v16, v5
	v_nop
	v_fma_f32 v17, -v5, v16, 1.0
	s_delay_alu instid0(VALU_DEP_1) | instskip(NEXT) | instid1(VALU_DEP_1)
	v_fmac_f32_e32 v16, v17, v16
	v_mul_f32_e32 v17, v21, v16
	s_delay_alu instid0(VALU_DEP_1) | instskip(NEXT) | instid1(VALU_DEP_1)
	v_fma_f32 v22, -v5, v17, v21
	v_fmac_f32_e32 v17, v22, v16
	s_delay_alu instid0(VALU_DEP_1) | instskip(NEXT) | instid1(VALU_DEP_1)
	v_fma_f32 v5, -v5, v17, v21
	v_div_fmas_f32 v5, v5, v16, v17
	s_delay_alu instid0(VALU_DEP_1) | instskip(NEXT) | instid1(VALU_DEP_1)
	v_div_fixup_f32 v5, v5, v15, v14
	v_fmac_f32_e32 v15, v14, v5
	s_delay_alu instid0(VALU_DEP_1) | instskip(SKIP_1) | instid1(VALU_DEP_2)
	v_div_scale_f32 v14, null, v15, v15, 1.0
	v_div_scale_f32 v21, vcc_lo, 1.0, v15, 1.0
	v_rcp_f32_e32 v16, v14
	v_nop
	s_delay_alu instid0(TRANS32_DEP_1) | instskip(NEXT) | instid1(VALU_DEP_1)
	v_fma_f32 v17, -v14, v16, 1.0
	v_fmac_f32_e32 v16, v17, v16
	s_delay_alu instid0(VALU_DEP_1) | instskip(NEXT) | instid1(VALU_DEP_1)
	v_mul_f32_e32 v17, v21, v16
	v_fma_f32 v22, -v14, v17, v21
	s_delay_alu instid0(VALU_DEP_1) | instskip(NEXT) | instid1(VALU_DEP_1)
	v_fmac_f32_e32 v17, v22, v16
	v_fma_f32 v14, -v14, v17, v21
	s_delay_alu instid0(VALU_DEP_1) | instskip(NEXT) | instid1(VALU_DEP_1)
	v_div_fmas_f32 v14, v14, v16, v17
	v_div_fixup_f32 v14, v14, v15, 1.0
	s_delay_alu instid0(VALU_DEP_1)
	v_mul_f32_e32 v16, v5, v14
	v_xor_b32_e32 v17, 0x80000000, v14
                                        ; implicit-def: $vgpr14_vgpr15
.LBB25_18:                              ;   in Loop: Header=BB25_4 Depth=1
	s_and_not1_saveexec_b32 s33, s33
	s_cbranch_execz .LBB25_20
; %bb.19:                               ;   in Loop: Header=BB25_4 Depth=1
	v_div_scale_f32 v5, null, v14, v14, v15
	v_div_scale_f32 v21, vcc_lo, v15, v14, v15
	s_delay_alu instid0(VALU_DEP_2) | instskip(SKIP_1) | instid1(TRANS32_DEP_1)
	v_rcp_f32_e32 v16, v5
	v_nop
	v_fma_f32 v17, -v5, v16, 1.0
	s_delay_alu instid0(VALU_DEP_1) | instskip(NEXT) | instid1(VALU_DEP_1)
	v_fmac_f32_e32 v16, v17, v16
	v_mul_f32_e32 v17, v21, v16
	s_delay_alu instid0(VALU_DEP_1) | instskip(NEXT) | instid1(VALU_DEP_1)
	v_fma_f32 v22, -v5, v17, v21
	v_fmac_f32_e32 v17, v22, v16
	s_delay_alu instid0(VALU_DEP_1) | instskip(NEXT) | instid1(VALU_DEP_1)
	v_fma_f32 v5, -v5, v17, v21
	v_div_fmas_f32 v5, v5, v16, v17
	s_delay_alu instid0(VALU_DEP_1) | instskip(NEXT) | instid1(VALU_DEP_1)
	v_div_fixup_f32 v5, v5, v14, v15
	v_fmac_f32_e32 v14, v15, v5
	s_delay_alu instid0(VALU_DEP_1) | instskip(NEXT) | instid1(VALU_DEP_1)
	v_div_scale_f32 v15, null, v14, v14, 1.0
	v_rcp_f32_e32 v16, v15
	v_nop
	s_delay_alu instid0(TRANS32_DEP_1) | instskip(NEXT) | instid1(VALU_DEP_1)
	v_fma_f32 v17, -v15, v16, 1.0
	v_fmac_f32_e32 v16, v17, v16
	v_div_scale_f32 v17, vcc_lo, 1.0, v14, 1.0
	s_delay_alu instid0(VALU_DEP_1) | instskip(NEXT) | instid1(VALU_DEP_1)
	v_mul_f32_e32 v21, v17, v16
	v_fma_f32 v22, -v15, v21, v17
	s_delay_alu instid0(VALU_DEP_1) | instskip(NEXT) | instid1(VALU_DEP_1)
	v_fmac_f32_e32 v21, v22, v16
	v_fma_f32 v15, -v15, v21, v17
	s_delay_alu instid0(VALU_DEP_1) | instskip(NEXT) | instid1(VALU_DEP_1)
	v_div_fmas_f32 v15, v15, v16, v21
	v_div_fixup_f32 v16, v15, v14, 1.0
	s_delay_alu instid0(VALU_DEP_1)
	v_mul_f32_e64 v17, v5, -v16
.LBB25_20:                              ;   in Loop: Header=BB25_4 Depth=1
	s_or_b32 exec_lo, exec_lo, s33
	ds_store_b64 v18, v[16:17]
.LBB25_21:                              ;   in Loop: Header=BB25_4 Depth=1
	s_and_not1_saveexec_b32 s1, s1
; %bb.22:                               ;   in Loop: Header=BB25_4 Depth=1
	ds_store_b64 v18, v[10:11]
; %bb.23:                               ;   in Loop: Header=BB25_4 Depth=1
	s_or_b32 exec_lo, exec_lo, s1
	s_mov_b32 s1, 0
.LBB25_24:                              ;   in Loop: Header=BB25_4 Depth=1
	s_delay_alu instid0(SALU_CYCLE_1)
	s_and_not1_b32 vcc_lo, exec_lo, s1
	s_cbranch_vccnz .LBB25_26
; %bb.25:                               ;   in Loop: Header=BB25_4 Depth=1
	ds_store_b64 v18, v[10:11]
.LBB25_26:                              ;   in Loop: Header=BB25_4 Depth=1
	s_or_b32 exec_lo, exec_lo, s31
	v_mov_b32_e32 v5, v20
	s_mov_b32 s1, 0
	s_mov_b32 s31, 8
	s_wait_dscnt 0x0
	; wave barrier
	s_branch .LBB25_28
.LBB25_27:                              ;   in Loop: Header=BB25_28 Depth=2
	v_add_nc_u32_e32 v5, s29, v5
	s_add_co_i32 s31, s31, s30
	s_cmp_eq_u32 s1, s14
	; wave barrier
	s_cbranch_scc1 .LBB25_37
.LBB25_28:                              ;   Parent Loop BB25_4 Depth=1
                                        ; =>  This Loop Header: Depth=2
                                        ;       Child Loop BB25_33 Depth 3
	v_dual_mov_b32 v15, 0 :: v_dual_mov_b32 v14, 0
	s_mul_i32 s33, s1, s14
	s_mov_b32 s34, exec_lo
	v_cmpx_lt_u32_e64 s1, v0
	s_cbranch_execz .LBB25_30
; %bb.29:                               ;   in Loop: Header=BB25_28 Depth=2
	s_lshl_b32 s35, s33, 3
	s_lshl_b32 s36, s1, 3
	s_delay_alu instid0(SALU_CYCLE_1) | instskip(NEXT) | instid1(SALU_CYCLE_1)
	s_add_co_i32 s36, s36, s35
	v_dual_add_nc_u32 v14, s35, v4 :: v_dual_mov_b32 v16, s36
	ds_load_b64 v[14:15], v14
	ds_load_b64 v[16:17], v16
	s_wait_dscnt 0x0
	v_dual_mul_f32 v21, v17, v15 :: v_dual_mul_f32 v22, v16, v15
	s_delay_alu instid0(VALU_DEP_1) | instskip(NEXT) | instid1(VALU_DEP_1)
	v_dual_fma_f32 v15, v16, v14, -v21 :: v_dual_fmac_f32 v22, v17, v14
	v_dual_add_f32 v15, 0, v15 :: v_dual_add_f32 v14, 0, v22
.LBB25_30:                              ;   in Loop: Header=BB25_28 Depth=2
	s_or_b32 exec_lo, exec_lo, s34
	s_add_co_i32 s1, s1, 1
	s_delay_alu instid0(SALU_CYCLE_1)
	s_cmp_ge_i32 s1, s14
	; wave barrier
	s_cbranch_scc1 .LBB25_27
; %bb.31:                               ;   in Loop: Header=BB25_28 Depth=2
	v_lshl_add_u32 v16, s33, 3, v4
	v_mov_b32_e32 v17, v5
	s_mov_b32 s33, s31
	s_mov_b32 s34, s1
	s_branch .LBB25_33
.LBB25_32:                              ;   in Loop: Header=BB25_33 Depth=3
	s_or_b32 exec_lo, exec_lo, s35
	v_add_nc_u32_e32 v17, s29, v17
	s_add_co_i32 s34, s34, 1
	s_add_co_i32 s33, s33, 8
	s_cmp_eq_u32 s14, s34
	; wave barrier
	s_cbranch_scc1 .LBB25_27
.LBB25_33:                              ;   Parent Loop BB25_4 Depth=1
                                        ;     Parent Loop BB25_28 Depth=2
                                        ; =>    This Inner Loop Header: Depth=3
	s_mov_b32 s35, exec_lo
	v_cmpx_eq_u32_e64 s34, v0
	s_cbranch_execz .LBB25_35
; %bb.34:                               ;   in Loop: Header=BB25_33 Depth=3
	ds_load_b64 v[22:23], v18
	v_sub_f32_e32 v24, 0, v15
	s_wait_dscnt 0x0
	v_pk_mul_f32 v[26:27], v[14:15], v[22:23] op_sel:[0,1] op_sel_hi:[0,0]
	s_delay_alu instid0(VALU_DEP_1) | instskip(SKIP_1) | instid1(VALU_DEP_2)
	v_pk_fma_f32 v[28:29], v[24:25], v[22:23], v[26:27] op_sel_hi:[0,1,1] neg_lo:[0,0,1] neg_hi:[0,0,1]
	v_pk_fma_f32 v[22:23], v[24:25], v[22:23], v[26:27]
	v_mov_b32_e32 v23, v29
	ds_store_b64 v16, v[22:23]
.LBB25_35:                              ;   in Loop: Header=BB25_33 Depth=3
	s_or_b32 exec_lo, exec_lo, s35
	s_delay_alu instid0(SALU_CYCLE_1)
	s_mov_b32 s35, exec_lo
	s_wait_dscnt 0x0
	; wave barrier
	v_cmpx_lt_u32_e64 s34, v0
	s_cbranch_execz .LBB25_32
; %bb.36:                               ;   in Loop: Header=BB25_33 Depth=3
	v_mov_b32_e32 v21, s33
	ds_load_b64 v[22:23], v17
	ds_load_b64 v[24:25], v21
	s_wait_dscnt 0x0
	v_dual_mul_f32 v21, v25, v23 :: v_dual_mul_f32 v23, v24, v23
	s_delay_alu instid0(VALU_DEP_1) | instskip(NEXT) | instid1(VALU_DEP_1)
	v_dual_fmac_f32 v23, v25, v22 :: v_dual_fma_f32 v21, v24, v22, -v21
	v_dual_add_f32 v14, v14, v23 :: v_dual_add_f32 v15, v15, v21
	s_branch .LBB25_32
.LBB25_37:                              ;   in Loop: Header=BB25_4 Depth=1
	s_and_saveexec_b32 s1, s0
	s_cbranch_execz .LBB25_2
; %bb.38:                               ;   in Loop: Header=BB25_4 Depth=1
	s_and_not1_b32 vcc_lo, exec_lo, s27
	s_mov_b32 s31, -1
	s_cbranch_vccnz .LBB25_42
; %bb.39:                               ;   in Loop: Header=BB25_4 Depth=1
	v_add_nc_u64_e32 v[14:15], v[12:13], v[8:9]
	v_mov_b32_e32 v5, v1
	s_mov_b32 s31, 0
	s_mov_b32 s33, s14
.LBB25_40:                              ;   Parent Loop BB25_4 Depth=1
                                        ; =>  This Inner Loop Header: Depth=2
	ds_load_b64 v[16:17], v5
	s_add_co_i32 s33, s33, -1
	v_add_nc_u32_e32 v5, s29, v5
	v_cmp_le_u32_e32 vcc_lo, s33, v0
	s_or_b32 s31, vcc_lo, s31
	s_wait_dscnt 0x0
	flat_store_b64 v[14:15], v[16:17]
	s_wait_xcnt 0x0
	v_add_nc_u64_e32 v[14:15], s[24:25], v[14:15]
	s_and_not1_b32 exec_lo, exec_lo, s31
	s_cbranch_execnz .LBB25_40
; %bb.41:                               ;   in Loop: Header=BB25_4 Depth=1
	s_or_b32 exec_lo, exec_lo, s31
	s_mov_b32 s31, 0
.LBB25_42:                              ;   in Loop: Header=BB25_4 Depth=1
	s_delay_alu instid0(SALU_CYCLE_1)
	s_and_b32 vcc_lo, exec_lo, s31
	s_cbranch_vccz .LBB25_2
; %bb.43:                               ;   in Loop: Header=BB25_4 Depth=1
	v_add_nc_u64_e32 v[12:13], s[16:17], v[12:13]
	v_dual_mov_b32 v5, v4 :: v_dual_mov_b32 v14, v19
	s_mov_b32 s31, 0
	s_delay_alu instid0(VALU_DEP_2) | instskip(NEXT) | instid1(VALU_DEP_1)
	v_add_nc_u64_e32 v[12:13], s[18:19], v[12:13]
	v_add_nc_u64_e32 v[12:13], v[12:13], v[2:3]
.LBB25_44:                              ;   Parent Loop BB25_4 Depth=1
                                        ; =>  This Inner Loop Header: Depth=2
	ds_load_b64 v[16:17], v5
	v_dual_add_nc_u32 v14, -1, v14 :: v_dual_add_nc_u32 v5, s29, v5
	s_delay_alu instid0(VALU_DEP_1)
	v_cmp_eq_u32_e32 vcc_lo, 0, v14
	s_or_b32 s31, vcc_lo, s31
	s_wait_dscnt 0x0
	flat_store_b64 v[12:13], v[16:17]
	s_wait_xcnt 0x0
	v_add_nc_u64_e32 v[12:13], s[22:23], v[12:13]
	s_and_not1_b32 exec_lo, exec_lo, s31
	s_cbranch_execnz .LBB25_44
	s_branch .LBB25_2
.LBB25_45:
	s_endpgm
	.section	.rodata,"a",@progbits
	.p2align	6, 0x0
	.amdhsa_kernel _ZL26rocblas_trtri_small_kernelILi16E19rocblas_complex_numIfEPKPKS1_PKPS1_Ev13rocblas_fill_17rocblas_diagonal_iT1_lillT2_lilli
		.amdhsa_group_segment_fixed_size 2048
		.amdhsa_private_segment_fixed_size 0
		.amdhsa_kernarg_size 100
		.amdhsa_user_sgpr_count 2
		.amdhsa_user_sgpr_dispatch_ptr 0
		.amdhsa_user_sgpr_queue_ptr 0
		.amdhsa_user_sgpr_kernarg_segment_ptr 1
		.amdhsa_user_sgpr_dispatch_id 0
		.amdhsa_user_sgpr_kernarg_preload_length 0
		.amdhsa_user_sgpr_kernarg_preload_offset 0
		.amdhsa_user_sgpr_private_segment_size 0
		.amdhsa_wavefront_size32 1
		.amdhsa_uses_dynamic_stack 0
		.amdhsa_enable_private_segment 0
		.amdhsa_system_sgpr_workgroup_id_x 1
		.amdhsa_system_sgpr_workgroup_id_y 0
		.amdhsa_system_sgpr_workgroup_id_z 1
		.amdhsa_system_sgpr_workgroup_info 0
		.amdhsa_system_vgpr_workitem_id 0
		.amdhsa_next_free_vgpr 30
		.amdhsa_next_free_sgpr 37
		.amdhsa_named_barrier_count 0
		.amdhsa_reserve_vcc 1
		.amdhsa_float_round_mode_32 0
		.amdhsa_float_round_mode_16_64 0
		.amdhsa_float_denorm_mode_32 3
		.amdhsa_float_denorm_mode_16_64 3
		.amdhsa_fp16_overflow 0
		.amdhsa_memory_ordered 1
		.amdhsa_forward_progress 1
		.amdhsa_inst_pref_size 15
		.amdhsa_round_robin_scheduling 0
		.amdhsa_exception_fp_ieee_invalid_op 0
		.amdhsa_exception_fp_denorm_src 0
		.amdhsa_exception_fp_ieee_div_zero 0
		.amdhsa_exception_fp_ieee_overflow 0
		.amdhsa_exception_fp_ieee_underflow 0
		.amdhsa_exception_fp_ieee_inexact 0
		.amdhsa_exception_int_div_zero 0
	.end_amdhsa_kernel
	.section	.text._ZL26rocblas_trtri_small_kernelILi16E19rocblas_complex_numIfEPKPKS1_PKPS1_Ev13rocblas_fill_17rocblas_diagonal_iT1_lillT2_lilli,"axG",@progbits,_ZL26rocblas_trtri_small_kernelILi16E19rocblas_complex_numIfEPKPKS1_PKPS1_Ev13rocblas_fill_17rocblas_diagonal_iT1_lillT2_lilli,comdat
.Lfunc_end25:
	.size	_ZL26rocblas_trtri_small_kernelILi16E19rocblas_complex_numIfEPKPKS1_PKPS1_Ev13rocblas_fill_17rocblas_diagonal_iT1_lillT2_lilli, .Lfunc_end25-_ZL26rocblas_trtri_small_kernelILi16E19rocblas_complex_numIfEPKPKS1_PKPS1_Ev13rocblas_fill_17rocblas_diagonal_iT1_lillT2_lilli
                                        ; -- End function
	.set _ZL26rocblas_trtri_small_kernelILi16E19rocblas_complex_numIfEPKPKS1_PKPS1_Ev13rocblas_fill_17rocblas_diagonal_iT1_lillT2_lilli.num_vgpr, 30
	.set _ZL26rocblas_trtri_small_kernelILi16E19rocblas_complex_numIfEPKPKS1_PKPS1_Ev13rocblas_fill_17rocblas_diagonal_iT1_lillT2_lilli.num_agpr, 0
	.set _ZL26rocblas_trtri_small_kernelILi16E19rocblas_complex_numIfEPKPKS1_PKPS1_Ev13rocblas_fill_17rocblas_diagonal_iT1_lillT2_lilli.numbered_sgpr, 37
	.set _ZL26rocblas_trtri_small_kernelILi16E19rocblas_complex_numIfEPKPKS1_PKPS1_Ev13rocblas_fill_17rocblas_diagonal_iT1_lillT2_lilli.num_named_barrier, 0
	.set _ZL26rocblas_trtri_small_kernelILi16E19rocblas_complex_numIfEPKPKS1_PKPS1_Ev13rocblas_fill_17rocblas_diagonal_iT1_lillT2_lilli.private_seg_size, 0
	.set _ZL26rocblas_trtri_small_kernelILi16E19rocblas_complex_numIfEPKPKS1_PKPS1_Ev13rocblas_fill_17rocblas_diagonal_iT1_lillT2_lilli.uses_vcc, 1
	.set _ZL26rocblas_trtri_small_kernelILi16E19rocblas_complex_numIfEPKPKS1_PKPS1_Ev13rocblas_fill_17rocblas_diagonal_iT1_lillT2_lilli.uses_flat_scratch, 0
	.set _ZL26rocblas_trtri_small_kernelILi16E19rocblas_complex_numIfEPKPKS1_PKPS1_Ev13rocblas_fill_17rocblas_diagonal_iT1_lillT2_lilli.has_dyn_sized_stack, 0
	.set _ZL26rocblas_trtri_small_kernelILi16E19rocblas_complex_numIfEPKPKS1_PKPS1_Ev13rocblas_fill_17rocblas_diagonal_iT1_lillT2_lilli.has_recursion, 0
	.set _ZL26rocblas_trtri_small_kernelILi16E19rocblas_complex_numIfEPKPKS1_PKPS1_Ev13rocblas_fill_17rocblas_diagonal_iT1_lillT2_lilli.has_indirect_call, 0
	.section	.AMDGPU.csdata,"",@progbits
; Kernel info:
; codeLenInByte = 1840
; TotalNumSgprs: 39
; NumVgprs: 30
; ScratchSize: 0
; MemoryBound: 0
; FloatMode: 240
; IeeeMode: 1
; LDSByteSize: 2048 bytes/workgroup (compile time only)
; SGPRBlocks: 0
; VGPRBlocks: 1
; NumSGPRsForWavesPerEU: 39
; NumVGPRsForWavesPerEU: 30
; NamedBarCnt: 0
; Occupancy: 16
; WaveLimiterHint : 0
; COMPUTE_PGM_RSRC2:SCRATCH_EN: 0
; COMPUTE_PGM_RSRC2:USER_SGPR: 2
; COMPUTE_PGM_RSRC2:TRAP_HANDLER: 0
; COMPUTE_PGM_RSRC2:TGID_X_EN: 1
; COMPUTE_PGM_RSRC2:TGID_Y_EN: 0
; COMPUTE_PGM_RSRC2:TGID_Z_EN: 1
; COMPUTE_PGM_RSRC2:TIDIG_COMP_CNT: 0
	.section	.text._ZL29rocblas_trtri_diagonal_kernelILi16E19rocblas_complex_numIfEPKPKS1_PKPS1_Ev13rocblas_fill_17rocblas_diagonal_iT1_lillT2_lilli,"axG",@progbits,_ZL29rocblas_trtri_diagonal_kernelILi16E19rocblas_complex_numIfEPKPKS1_PKPS1_Ev13rocblas_fill_17rocblas_diagonal_iT1_lillT2_lilli,comdat
	.globl	_ZL29rocblas_trtri_diagonal_kernelILi16E19rocblas_complex_numIfEPKPKS1_PKPS1_Ev13rocblas_fill_17rocblas_diagonal_iT1_lillT2_lilli ; -- Begin function _ZL29rocblas_trtri_diagonal_kernelILi16E19rocblas_complex_numIfEPKPKS1_PKPS1_Ev13rocblas_fill_17rocblas_diagonal_iT1_lillT2_lilli
	.p2align	8
	.type	_ZL29rocblas_trtri_diagonal_kernelILi16E19rocblas_complex_numIfEPKPKS1_PKPS1_Ev13rocblas_fill_17rocblas_diagonal_iT1_lillT2_lilli,@function
_ZL29rocblas_trtri_diagonal_kernelILi16E19rocblas_complex_numIfEPKPKS1_PKPS1_Ev13rocblas_fill_17rocblas_diagonal_iT1_lillT2_lilli: ; @_ZL29rocblas_trtri_diagonal_kernelILi16E19rocblas_complex_numIfEPKPKS1_PKPS1_Ev13rocblas_fill_17rocblas_diagonal_iT1_lillT2_lilli
; %bb.0:
	s_load_b32 s33, s[0:1], 0x60
	s_bfe_u32 s2, ttmp6, 0x40014
	s_lshr_b32 s3, ttmp7, 16
	s_add_co_i32 s2, s2, 1
	s_bfe_u32 s4, ttmp6, 0x40008
	s_mul_i32 s2, s3, s2
	s_getreg_b32 s7, hwreg(HW_REG_IB_STS2, 6, 4)
	s_add_co_i32 s4, s4, s2
	s_cmp_eq_u32 s7, 0
	s_mov_b32 s19, 0
	s_cselect_b32 s40, s3, s4
	s_wait_kmcnt 0x0
	s_cmp_ge_u32 s40, s33
	s_cbranch_scc1 .LBB26_92
; %bb.1:
	s_clause 0x2
	s_load_b96 s[4:6], s[0:1], 0x0
	s_load_b128 s[8:11], s[0:1], 0x10
	s_load_b32 s26, s[0:1], 0x20
	s_bfe_u32 s22, ttmp6, 0x4000c
	v_cvt_f32_ubyte0_e32 v4, v0
	s_add_co_i32 s22, s22, 1
	v_dual_mov_b32 v3, 0 :: v_dual_lshlrev_b32 v2, 3, v0
	s_mul_i32 s22, ttmp9, s22
	s_delay_alu instid0(VALU_DEP_1) | instskip(SKIP_2) | instid1(SALU_CYCLE_1)
	v_dual_mov_b32 v5, v3 :: v_dual_mov_b32 v21, v3
	s_wait_kmcnt 0x0
	s_ashr_i32 s2, s6, 31
	s_lshr_b32 s2, s2, 27
	s_ashr_i32 s27, s26, 31
	s_add_co_i32 s2, s6, s2
	s_delay_alu instid0(SALU_CYCLE_1) | instskip(NEXT) | instid1(SALU_CYCLE_1)
	s_ashr_i32 s20, s2, 5
	s_cvt_f32_u32 s2, s20
	s_delay_alu instid0(SALU_CYCLE_3)
	v_rcp_iflag_f32_e32 v1, s2
	s_clause 0x2
	s_load_b96 s[16:18], s[0:1], 0x40
	s_load_b128 s[12:15], s[0:1], 0x30
	s_load_b64 s[2:3], s[0:1], 0x58
	s_wait_xcnt 0x0
	s_and_b32 s0, ttmp6, 15
	s_mov_b32 s1, s19
	s_add_co_i32 s0, s0, s22
	s_sub_co_i32 s22, 0, s20
	v_nop
	v_readfirstlane_b32 s21, v1
	v_mov_b32_e32 v1, v3
	s_mul_f32 s21, s21, 0x4f7ffffe
	s_delay_alu instid0(SALU_CYCLE_3) | instskip(SKIP_2) | instid1(SALU_CYCLE_1)
	s_cvt_u32_f32 s21, s21
	s_wait_kmcnt 0x0
	s_ashr_i32 s37, s18, 31
	s_mul_i32 s22, s22, s21
	s_mov_b32 s36, s18
	s_mul_hi_u32 s24, s21, s22
	s_lshl_b64 s[22:23], s[26:27], 5
	s_add_co_i32 s24, s21, s24
	s_cmp_eq_u32 s7, 0
	s_add_nc_u64 s[22:23], s[22:23], 32
	s_cselect_b32 s30, ttmp9, s0
	s_mov_b32 s7, s19
	s_mul_hi_u32 s0, s30, s24
	s_mov_b32 s21, s19
	s_mul_i32 s24, s0, s20
	s_add_co_i32 s25, s0, 1
	s_sub_co_i32 s24, s30, s24
	s_delay_alu instid0(SALU_CYCLE_1)
	s_sub_co_i32 s28, s24, s20
	s_cmp_ge_u32 s24, s20
	s_cselect_b32 s0, s25, s0
	s_cselect_b32 s18, s28, s24
	s_add_co_i32 s24, s0, 1
	s_cmp_ge_u32 s18, s20
	s_cselect_b32 s0, s24, s0
	s_lshl_b64 s[24:25], s[36:37], 5
	s_mul_i32 s18, s0, s20
	s_mul_u64 s[28:29], s[12:13], s[0:1]
	s_sub_co_i32 s18, s30, s18
	s_mul_u64 s[30:31], s[2:3], s[0:1]
	s_lshl_b32 s0, s18, 4
	s_add_nc_u64 s[12:13], s[24:25], 32
	s_sub_co_i32 s1, s6, s0
	s_mul_u64 s[24:25], s[22:23], s[18:19]
	s_mul_u64 s[34:35], s[12:13], s[18:19]
	s_min_u32 s18, s1, 16
	s_cmp_lg_u32 s6, s0
	v_cvt_f32_ubyte0_e32 v10, s18
	s_mul_u64 s[2:3], s[18:19], s[26:27]
	s_cselect_b32 s41, -1, 0
	s_lshl_b32 s45, s18, 1
	s_add_nc_u64 s[38:39], s[2:3], s[18:19]
	v_rcp_iflag_f32_e32 v12, v10
	v_mov_b32_e32 v6, s18
	v_cmp_gt_u32_e64 s2, s45, v0
	v_cmp_gt_u32_e32 vcc_lo, s18, v0
	s_mul_u64 s[12:13], s[18:19], s[36:37]
	s_cmp_lg_u32 s4, 0x7a
	s_add_nc_u64 s[46:47], s[12:13], s[18:19]
	v_dual_mul_f32 v12, v4, v12 :: v_dual_cndmask_b32 v13, s45, v6, s2
	v_cndmask_b32_e64 v7, 0, 0x1800, s2
	v_cndmask_b32_e64 v9, s39, 0, vcc_lo
	v_cndmask_b32_e64 v8, s38, 0, vcc_lo
	s_delay_alu instid0(VALU_DEP_4) | instskip(SKIP_4) | instid1(VALU_DEP_4)
	v_trunc_f32_e32 v12, v12
	v_cndmask_b32_e64 v19, v13, 0, vcc_lo
	v_cndmask_b32_e64 v11, v7, 0x1000, vcc_lo
	;; [unrolled: 1-line block ×4, first 2 shown]
	v_dual_fma_f32 v4, -v12, v10, v4 :: v_dual_lshlrev_b32 v20, 3, v19
	v_cvt_u32_f32_e32 v12, v12
	s_cselect_b32 s42, -1, 0
	s_cmp_lg_u32 s5, 0x84
	s_delay_alu instid0(VALU_DEP_2)
	v_cmp_ge_f32_e64 vcc_lo, |v4|, v10
	s_cselect_b32 s43, -1, 0
	s_add_co_i32 s6, s18, -1
	s_lshl_b32 s20, s18, 3
	s_lshl_b64 s[22:23], s[28:29], 3
	v_add_co_ci_u32_e64 v12, null, 0, v12, vcc_lo
	s_lshl_b64 s[24:25], s[24:25], 3
	s_mul_i32 s38, s18, s6
	s_lshl_b64 s[28:29], s[6:7], 3
	s_mul_u64 s[6:7], s[26:27], s[6:7]
	v_lshlrev_b64_e32 v[14:15], 3, v[8:9]
	v_mul_lo_u16 v9, v12, s18
	s_add_nc_u64 s[4:5], s[22:23], s[24:25]
	s_add_nc_u64 s[28:29], s[20:21], s[28:29]
	s_lshl_b64 s[6:7], s[6:7], 3
	s_mul_i32 s0, s18, 3
	s_mul_i32 s1, s18, s18
	s_lshl_b64 s[10:11], s[10:11], 3
	s_mul_u64 s[28:29], s[28:29], s[26:27]
	s_add_nc_u64 s[6:7], s[4:5], s[6:7]
	v_cmp_gt_u32_e64 s0, s0, v0
	v_cmp_gt_u32_e64 s1, s1, v0
	v_cmp_le_u32_e64 s3, s45, v0
	v_lshl_add_u32 v18, s38, 3, v2
	v_sub_nc_u32_e32 v4, v0, v19
	v_sub_nc_u16 v0, v0, v9
	s_add_nc_u64 s[38:39], s[10:11], s[4:5]
	s_add_nc_u64 s[28:29], s[4:5], s[28:29]
	;; [unrolled: 1-line block ×3, first 2 shown]
	s_add_co_i32 s44, s18, 1
	v_add_nc_u64_e32 v[16:17], s[4:5], v[14:15]
	v_add_nc_u64_e32 v[14:15], s[38:39], v[14:15]
	v_and_b32_e32 v10, 0xffff, v0
	v_sub_nc_u32_e32 v18, v18, v20
	v_add_lshl_u32 v22, v19, s18, 3
	v_mul_i32_i24_e32 v13, s44, v4
	v_and_b32_e32 v0, 0xffff, v12
	s_add_nc_u64 s[28:29], s[28:29], s[10:11]
	v_dual_lshlrev_b32 v37, 3, v10 :: v_dual_add_nc_u32 v8, s18, v4
	v_add_nc_u32_e32 v36, v11, v18
	v_add_nc_u64_e32 v[18:19], s[28:29], v[2:3]
	v_dual_sub_nc_u32 v25, v22, v2 :: v_dual_add_nc_u32 v27, s20, v2
	v_add_nc_u64_e32 v[22:23], v[14:15], v[2:3]
	v_lshl_add_u32 v35, v13, 3, v11
	v_cmp_gt_u16_e64 s6, 16, v12
	v_mul_u64_e32 v[12:13], s[36:37], v[0:1]
	v_lshlrev_b32_e32 v38, 7, v0
	s_add_nc_u64 s[38:39], s[18:19], -1
	s_lshl_b64 s[30:31], s[30:31], 3
	s_mul_u64 s[38:39], s[38:39], s[36:37]
	v_sub_nc_u64_e32 v[14:15], v[18:19], v[20:21]
	s_lshl_b64 s[38:39], s[38:39], 3
	v_add3_u32 v39, v25, v11, -8
	v_sub_nc_u32_e32 v25, v27, v20
	v_sub_nc_u64_e32 v[18:19], v[22:23], v[20:21]
	v_sub_nc_u32_e32 v22, s20, v37
	s_add_nc_u64 s[38:39], s[38:39], s[30:31]
	s_lshl_b64 s[34:35], s[34:35], 3
	s_lshl_b64 s[16:17], s[16:17], 3
	s_add_nc_u64 s[38:39], s[38:39], s[34:35]
	v_dual_add_nc_u32 v40, v11, v25 :: v_dual_bitop2_b32 v41, 8, v11 bitop3:0x54
	v_mul_lo_u32 v25, s18, v22
	s_add_nc_u64 s[38:39], s[16:17], s[38:39]
	v_mul_u32_u24_e32 v24, s18, v0
	v_lshl_add_u64 v[22:23], v[6:7], 3, s[38:39]
	v_add_nc_u64_e32 v[16:17], v[16:17], v[2:3]
	v_dual_ashrrev_i32 v9, 31, v8 :: v_dual_add_nc_u32 v26, s18, v10
	v_add_nc_u32_e32 v43, -1, v0
	s_delay_alu instid0(VALU_DEP_4)
	v_add_nc_u64_e32 v[22:23], v[22:23], v[2:3]
	v_dual_lshlrev_b32 v24, 3, v24 :: v_dual_add_nc_u32 v45, v38, v37
	v_sub_nc_u32_e32 v25, v25, v37
	v_sub_nc_u64_e32 v[16:17], v[16:17], v[20:21]
	s_movk_i32 s7, 0x88
	v_lshl_add_u32 v34, v4, 3, v11
	v_sub_nc_u64_e32 v[20:21], v[22:23], v[20:21]
	v_mov_b64_e32 v[22:23], 0x3f800000
	v_cmp_gt_i32_e64 s4, s18, v4
	v_cmp_lt_i32_e64 s5, -1, v4
	v_add_nc_u32_e32 v1, 0x800, v37
	v_sub_nc_u32_e32 v42, 0x1ff8, v38
	v_mad_u32_u24 v44, v0, s7, 0x1000
	v_dual_add_nc_u32 v46, -1, v10 :: v_dual_add_nc_u32 v51, 1, v4
	v_add3_u32 v47, v24, v37, 0x800
	v_add_nc_u32_e32 v48, 0xff8, v25
	v_add_nc_u32_e32 v49, 0x800, v24
	;; [unrolled: 1-line block ×3, first 2 shown]
	v_lshlrev_b32_e32 v24, 3, v10
	v_lshlrev_b32_e32 v2, 3, v26
	s_lshl_b64 s[26:27], s[26:27], 3
	s_lshl_b64 s[36:37], s[36:37], 3
	s_sub_co_i32 s45, 0, s20
	s_sub_nc_u64 s[28:29], 0, s[26:27]
	s_add_co_i32 s19, s20, 8
	s_sub_nc_u64 s[38:39], 0, s[36:37]
	s_branch .LBB26_4
.LBB26_2:                               ;   in Loop: Header=BB26_4 Depth=1
	s_or_b32 exec_lo, exec_lo, s7
.LBB26_3:                               ;   in Loop: Header=BB26_4 Depth=1
	s_add_co_i32 s40, s40, 0x10000
	s_delay_alu instid0(SALU_CYCLE_1)
	s_cmp_lt_u32 s40, s33
	s_cbranch_scc0 .LBB26_92
.LBB26_4:                               ; =>This Loop Header: Depth=1
                                        ;     Child Loop BB26_9 Depth 2
                                        ;     Child Loop BB26_13 Depth 2
	;; [unrolled: 1-line block ×5, first 2 shown]
                                        ;       Child Loop BB26_48 Depth 3
                                        ;     Child Loop BB26_55 Depth 2
                                        ;     Child Loop BB26_62 Depth 2
	;; [unrolled: 1-line block ×6, first 2 shown]
	s_and_not1_b32 vcc_lo, exec_lo, s41
	s_cbranch_vccnz .LBB26_3
; %bb.5:                                ;   in Loop: Header=BB26_4 Depth=1
	v_mov_b32_e32 v25, s40
	s_clause 0x1
	global_load_b64 v[28:29], v25, s[8:9] scale_offset
	global_load_b64 v[26:27], v25, s[14:15] scale_offset
	s_wait_xcnt 0x0
	s_and_saveexec_b32 s7, s3
	s_delay_alu instid0(SALU_CYCLE_1)
	s_xor_b32 s7, exec_lo, s7
	s_cbranch_execz .LBB26_15
; %bb.6:                                ;   in Loop: Header=BB26_4 Depth=1
	s_and_saveexec_b32 s21, s0
	s_cbranch_execz .LBB26_14
; %bb.7:                                ;   in Loop: Header=BB26_4 Depth=1
	s_and_not1_b32 vcc_lo, exec_lo, s42
	s_mov_b32 s46, -1
	s_cbranch_vccnz .LBB26_11
; %bb.8:                                ;   in Loop: Header=BB26_4 Depth=1
	s_wait_loadcnt 0x1
	v_add_nc_u64_e32 v[30:31], v[28:29], v[14:15]
	v_mov_b32_e32 v25, v36
	s_mov_b32 s46, s44
.LBB26_9:                               ;   Parent Loop BB26_4 Depth=1
                                        ; =>  This Inner Loop Header: Depth=2
	flat_load_b64 v[32:33], v[30:31]
	s_wait_xcnt 0x0
	v_add_nc_u64_e32 v[30:31], s[28:29], v[30:31]
	s_add_co_i32 s46, s46, -1
	s_delay_alu instid0(SALU_CYCLE_1)
	s_cmp_gt_u32 s46, 1
	s_wait_loadcnt_dscnt 0x0
	ds_store_b64 v25, v[32:33]
	v_add_nc_u32_e32 v25, s45, v25
	s_cbranch_scc1 .LBB26_9
; %bb.10:                               ;   in Loop: Header=BB26_4 Depth=1
	s_mov_b32 s46, 0
.LBB26_11:                              ;   in Loop: Header=BB26_4 Depth=1
	s_delay_alu instid0(SALU_CYCLE_1)
	s_and_b32 vcc_lo, exec_lo, s46
	s_cbranch_vccz .LBB26_14
; %bb.12:                               ;   in Loop: Header=BB26_4 Depth=1
	s_wait_loadcnt 0x1
	v_add_nc_u64_e32 v[28:29], s[10:11], v[28:29]
	v_mov_b32_e32 v25, v34
	s_mov_b32 s46, s18
	s_delay_alu instid0(VALU_DEP_2) | instskip(NEXT) | instid1(VALU_DEP_1)
	v_add_nc_u64_e32 v[28:29], s[24:25], v[28:29]
	v_add_nc_u64_e32 v[28:29], s[22:23], v[28:29]
	s_delay_alu instid0(VALU_DEP_1)
	v_lshl_add_u64 v[28:29], v[8:9], 3, v[28:29]
.LBB26_13:                              ;   Parent Loop BB26_4 Depth=1
                                        ; =>  This Inner Loop Header: Depth=2
	flat_load_b64 v[30:31], v[28:29]
	s_wait_xcnt 0x0
	v_add_nc_u64_e32 v[28:29], s[26:27], v[28:29]
	s_add_co_i32 s46, s46, -1
	s_delay_alu instid0(SALU_CYCLE_1)
	s_cmp_eq_u32 s46, 0
	s_wait_loadcnt_dscnt 0x0
	ds_store_b64 v25, v[30:31]
	v_add_nc_u32_e32 v25, s20, v25
	s_cbranch_scc0 .LBB26_13
.LBB26_14:                              ;   in Loop: Header=BB26_4 Depth=1
	s_or_b32 exec_lo, exec_lo, s21
                                        ; implicit-def: $vgpr28_vgpr29
.LBB26_15:                              ;   in Loop: Header=BB26_4 Depth=1
	s_and_not1_saveexec_b32 s7, s7
	s_cbranch_execz .LBB26_27
; %bb.16:                               ;   in Loop: Header=BB26_4 Depth=1
	s_and_b32 vcc_lo, exec_lo, s42
	s_mov_b32 s21, -1
	s_cbranch_vccz .LBB26_22
; %bb.17:                               ;   in Loop: Header=BB26_4 Depth=1
	s_wait_loadcnt 0x1
	v_add_nc_u64_e32 v[30:31], v[28:29], v[16:17]
	v_mov_b32_e32 v25, v39
	s_mov_b32 s21, s18
	s_branch .LBB26_19
.LBB26_18:                              ;   in Loop: Header=BB26_19 Depth=2
	s_wait_xcnt 0x0
	s_or_b32 exec_lo, exec_lo, s46
	v_add_nc_u64_e32 v[30:31], s[28:29], v[30:31]
	s_wait_loadcnt_dscnt 0x0
	ds_store_b64 v25, v[32:33]
	v_add_nc_u32_e32 v25, s20, v25
	s_cmp_lt_i32 s21, 1
	s_cbranch_scc1 .LBB26_21
.LBB26_19:                              ;   Parent Loop BB26_4 Depth=1
                                        ; =>  This Inner Loop Header: Depth=2
	v_dual_mov_b32 v32, 0 :: v_dual_mov_b32 v33, 0
	s_add_co_i32 s21, s21, -1
	s_mov_b32 s46, exec_lo
	v_cmpx_ge_i32_e64 s21, v4
	s_cbranch_execz .LBB26_18
; %bb.20:                               ;   in Loop: Header=BB26_19 Depth=2
	flat_load_b64 v[32:33], v[30:31]
	s_branch .LBB26_18
.LBB26_21:                              ;   in Loop: Header=BB26_4 Depth=1
	s_mov_b32 s21, 0
.LBB26_22:                              ;   in Loop: Header=BB26_4 Depth=1
	s_delay_alu instid0(SALU_CYCLE_1)
	s_and_b32 vcc_lo, exec_lo, s21
	s_cbranch_vccz .LBB26_27
; %bb.23:                               ;   in Loop: Header=BB26_4 Depth=1
	s_wait_loadcnt 0x1
	v_add_nc_u64_e32 v[28:29], v[28:29], v[18:19]
	v_mov_b32_e32 v25, v34
	s_mov_b32 s21, 0
	s_branch .LBB26_25
.LBB26_24:                              ;   in Loop: Header=BB26_25 Depth=2
	s_wait_xcnt 0x0
	s_or_b32 exec_lo, exec_lo, s46
	v_add_nc_u64_e32 v[28:29], s[26:27], v[28:29]
	s_wait_loadcnt_dscnt 0x0
	ds_store_b64 v25, v[30:31]
	v_add_nc_u32_e32 v25, s20, v25
	s_add_co_i32 s21, s21, 1
	s_delay_alu instid0(SALU_CYCLE_1)
	s_cmp_eq_u32 s18, s21
	s_cbranch_scc1 .LBB26_27
.LBB26_25:                              ;   Parent Loop BB26_4 Depth=1
                                        ; =>  This Inner Loop Header: Depth=2
	v_dual_mov_b32 v30, 0 :: v_dual_mov_b32 v31, 0
	s_mov_b32 s46, exec_lo
	v_cmpx_le_i32_e64 s21, v4
	s_cbranch_execz .LBB26_24
; %bb.26:                               ;   in Loop: Header=BB26_25 Depth=2
	flat_load_b64 v[30:31], v[28:29]
	s_branch .LBB26_24
.LBB26_27:                              ;   in Loop: Header=BB26_4 Depth=1
	s_or_b32 exec_lo, exec_lo, s7
	s_wait_loadcnt_dscnt 0x0
	s_barrier_signal -1
	s_barrier_wait -1
	s_and_saveexec_b32 s21, s2
	s_cbranch_execz .LBB26_40
; %bb.28:                               ;   in Loop: Header=BB26_4 Depth=1
	s_and_b32 vcc_lo, exec_lo, s43
	s_mov_b32 s7, -1
	s_cbranch_vccz .LBB26_38
; %bb.29:                               ;   in Loop: Header=BB26_4 Depth=1
	ds_load_b64 v[28:29], v35
	s_wait_dscnt 0x0
	v_cmp_neq_f32_e32 vcc_lo, 0, v28
	v_cmp_neq_f32_e64 s7, 0, v29
	s_or_b32 s7, vcc_lo, s7
	s_delay_alu instid0(SALU_CYCLE_1) | instskip(NEXT) | instid1(SALU_CYCLE_1)
	s_and_saveexec_b32 s46, s7
	s_xor_b32 s7, exec_lo, s46
	s_cbranch_execz .LBB26_35
; %bb.30:                               ;   in Loop: Header=BB26_4 Depth=1
	v_cmp_ngt_f32_e64 s46, |v28|, |v29|
                                        ; implicit-def: $vgpr30_vgpr31
	s_and_saveexec_b32 s47, s46
	s_delay_alu instid0(SALU_CYCLE_1)
	s_xor_b32 s46, exec_lo, s47
	s_cbranch_execz .LBB26_32
; %bb.31:                               ;   in Loop: Header=BB26_4 Depth=1
	v_div_scale_f32 v25, null, v29, v29, v28
	v_div_scale_f32 v32, vcc_lo, v28, v29, v28
	s_delay_alu instid0(VALU_DEP_2) | instskip(SKIP_1) | instid1(TRANS32_DEP_1)
	v_rcp_f32_e32 v30, v25
	v_nop
	v_fma_f32 v31, -v25, v30, 1.0
	s_delay_alu instid0(VALU_DEP_1) | instskip(NEXT) | instid1(VALU_DEP_1)
	v_fmac_f32_e32 v30, v31, v30
	v_mul_f32_e32 v31, v32, v30
	s_delay_alu instid0(VALU_DEP_1) | instskip(NEXT) | instid1(VALU_DEP_1)
	v_fma_f32 v33, -v25, v31, v32
	v_fmac_f32_e32 v31, v33, v30
	s_delay_alu instid0(VALU_DEP_1) | instskip(NEXT) | instid1(VALU_DEP_1)
	v_fma_f32 v25, -v25, v31, v32
	v_div_fmas_f32 v25, v25, v30, v31
	s_delay_alu instid0(VALU_DEP_1) | instskip(NEXT) | instid1(VALU_DEP_1)
	v_div_fixup_f32 v25, v25, v29, v28
	v_fmac_f32_e32 v29, v28, v25
	s_delay_alu instid0(VALU_DEP_1) | instskip(SKIP_1) | instid1(VALU_DEP_2)
	v_div_scale_f32 v28, null, v29, v29, 1.0
	v_div_scale_f32 v32, vcc_lo, 1.0, v29, 1.0
	v_rcp_f32_e32 v30, v28
	v_nop
	s_delay_alu instid0(TRANS32_DEP_1) | instskip(NEXT) | instid1(VALU_DEP_1)
	v_fma_f32 v31, -v28, v30, 1.0
	v_fmac_f32_e32 v30, v31, v30
	s_delay_alu instid0(VALU_DEP_1) | instskip(NEXT) | instid1(VALU_DEP_1)
	v_mul_f32_e32 v31, v32, v30
	v_fma_f32 v33, -v28, v31, v32
	s_delay_alu instid0(VALU_DEP_1) | instskip(NEXT) | instid1(VALU_DEP_1)
	v_fmac_f32_e32 v31, v33, v30
	v_fma_f32 v28, -v28, v31, v32
	s_delay_alu instid0(VALU_DEP_1) | instskip(NEXT) | instid1(VALU_DEP_1)
	v_div_fmas_f32 v28, v28, v30, v31
	v_div_fixup_f32 v28, v28, v29, 1.0
	s_delay_alu instid0(VALU_DEP_1)
	v_mul_f32_e32 v30, v25, v28
	v_xor_b32_e32 v31, 0x80000000, v28
                                        ; implicit-def: $vgpr28_vgpr29
.LBB26_32:                              ;   in Loop: Header=BB26_4 Depth=1
	s_and_not1_saveexec_b32 s46, s46
	s_cbranch_execz .LBB26_34
; %bb.33:                               ;   in Loop: Header=BB26_4 Depth=1
	v_div_scale_f32 v25, null, v28, v28, v29
	v_div_scale_f32 v32, vcc_lo, v29, v28, v29
	s_delay_alu instid0(VALU_DEP_2) | instskip(SKIP_1) | instid1(TRANS32_DEP_1)
	v_rcp_f32_e32 v30, v25
	v_nop
	v_fma_f32 v31, -v25, v30, 1.0
	s_delay_alu instid0(VALU_DEP_1) | instskip(NEXT) | instid1(VALU_DEP_1)
	v_fmac_f32_e32 v30, v31, v30
	v_mul_f32_e32 v31, v32, v30
	s_delay_alu instid0(VALU_DEP_1) | instskip(NEXT) | instid1(VALU_DEP_1)
	v_fma_f32 v33, -v25, v31, v32
	v_fmac_f32_e32 v31, v33, v30
	s_delay_alu instid0(VALU_DEP_1) | instskip(NEXT) | instid1(VALU_DEP_1)
	v_fma_f32 v25, -v25, v31, v32
	v_div_fmas_f32 v25, v25, v30, v31
	s_delay_alu instid0(VALU_DEP_1) | instskip(NEXT) | instid1(VALU_DEP_1)
	v_div_fixup_f32 v25, v25, v28, v29
	v_fmac_f32_e32 v28, v29, v25
	s_delay_alu instid0(VALU_DEP_1) | instskip(NEXT) | instid1(VALU_DEP_1)
	v_div_scale_f32 v29, null, v28, v28, 1.0
	v_rcp_f32_e32 v30, v29
	v_nop
	s_delay_alu instid0(TRANS32_DEP_1) | instskip(NEXT) | instid1(VALU_DEP_1)
	v_fma_f32 v31, -v29, v30, 1.0
	v_fmac_f32_e32 v30, v31, v30
	v_div_scale_f32 v31, vcc_lo, 1.0, v28, 1.0
	s_delay_alu instid0(VALU_DEP_1) | instskip(NEXT) | instid1(VALU_DEP_1)
	v_mul_f32_e32 v32, v31, v30
	v_fma_f32 v33, -v29, v32, v31
	s_delay_alu instid0(VALU_DEP_1) | instskip(NEXT) | instid1(VALU_DEP_1)
	v_fmac_f32_e32 v32, v33, v30
	v_fma_f32 v29, -v29, v32, v31
	s_delay_alu instid0(VALU_DEP_1) | instskip(NEXT) | instid1(VALU_DEP_1)
	v_div_fmas_f32 v29, v29, v30, v32
	v_div_fixup_f32 v30, v29, v28, 1.0
	s_delay_alu instid0(VALU_DEP_1)
	v_mul_f32_e64 v31, v25, -v30
.LBB26_34:                              ;   in Loop: Header=BB26_4 Depth=1
	s_or_b32 exec_lo, exec_lo, s46
	ds_store_b64 v35, v[30:31]
.LBB26_35:                              ;   in Loop: Header=BB26_4 Depth=1
	s_and_not1_saveexec_b32 s7, s7
; %bb.36:                               ;   in Loop: Header=BB26_4 Depth=1
	ds_store_b64 v35, v[22:23]
; %bb.37:                               ;   in Loop: Header=BB26_4 Depth=1
	s_or_b32 exec_lo, exec_lo, s7
	s_mov_b32 s7, 0
.LBB26_38:                              ;   in Loop: Header=BB26_4 Depth=1
	s_delay_alu instid0(SALU_CYCLE_1)
	s_and_not1_b32 vcc_lo, exec_lo, s7
	s_cbranch_vccnz .LBB26_40
; %bb.39:                               ;   in Loop: Header=BB26_4 Depth=1
	ds_store_b64 v35, v[22:23]
.LBB26_40:                              ;   in Loop: Header=BB26_4 Depth=1
	s_or_b32 exec_lo, exec_lo, s21
	s_wait_dscnt 0x0
	s_barrier_signal -1
	s_barrier_wait -1
	s_and_saveexec_b32 s7, s2
	s_cbranch_execz .LBB26_52
; %bb.41:                               ;   in Loop: Header=BB26_4 Depth=1
	v_dual_mov_b32 v25, v41 :: v_dual_mov_b32 v29, v40
	s_mov_b32 s21, 0
	s_branch .LBB26_43
.LBB26_42:                              ;   in Loop: Header=BB26_43 Depth=2
	v_add_nc_u32_e32 v29, s20, v29
	v_add_nc_u32_e32 v25, s19, v25
	s_cmp_eq_u32 s21, s18
	s_cbranch_scc1 .LBB26_52
.LBB26_43:                              ;   Parent Loop BB26_4 Depth=1
                                        ; =>  This Loop Header: Depth=2
                                        ;       Child Loop BB26_48 Depth 3
	v_dual_mov_b32 v30, 0 :: v_dual_mov_b32 v28, 0
	s_mul_i32 s46, s21, s18
	s_mov_b32 s47, exec_lo
	v_cmpx_lt_i32_e64 s21, v4
	s_cbranch_execz .LBB26_45
; %bb.44:                               ;   in Loop: Header=BB26_43 Depth=2
	s_lshl_b32 s48, s46, 3
	s_lshl_b32 s49, s21, 3
	v_add_nc_u32_e32 v28, s48, v34
	v_add3_u32 v32, s48, s49, v11
	ds_load_b64 v[30:31], v28
	ds_load_b64 v[32:33], v32
	s_wait_dscnt 0x0
	v_dual_mul_f32 v28, v33, v31 :: v_dual_mul_f32 v31, v32, v31
	s_delay_alu instid0(VALU_DEP_1) | instskip(NEXT) | instid1(VALU_DEP_1)
	v_dual_fmac_f32 v31, v33, v30 :: v_dual_fma_f32 v28, v32, v30, -v28
	v_dual_add_f32 v30, 0, v28 :: v_dual_add_f32 v28, 0, v31
.LBB26_45:                              ;   in Loop: Header=BB26_43 Depth=2
	s_or_b32 exec_lo, exec_lo, s47
	s_add_co_i32 s21, s21, 1
	s_delay_alu instid0(SALU_CYCLE_1)
	s_cmp_ge_u32 s21, s18
	s_cbranch_scc1 .LBB26_42
; %bb.46:                               ;   in Loop: Header=BB26_43 Depth=2
	v_lshl_add_u32 v31, s46, 3, v34
	v_dual_mov_b32 v32, v25 :: v_dual_mov_b32 v33, v29
	s_mov_b32 s46, s21
	s_branch .LBB26_48
.LBB26_47:                              ;   in Loop: Header=BB26_48 Depth=3
	s_or_b32 exec_lo, exec_lo, s47
	v_dual_add_nc_u32 v33, s20, v33 :: v_dual_add_nc_u32 v32, 8, v32
	s_add_co_i32 s46, s46, 1
	s_delay_alu instid0(SALU_CYCLE_1)
	s_cmp_eq_u32 s18, s46
	s_cbranch_scc1 .LBB26_42
.LBB26_48:                              ;   Parent Loop BB26_4 Depth=1
                                        ;     Parent Loop BB26_43 Depth=2
                                        ; =>    This Inner Loop Header: Depth=3
	s_mov_b32 s47, exec_lo
	v_cmpx_eq_u32_e64 s46, v4
	s_cbranch_execz .LBB26_50
; %bb.49:                               ;   in Loop: Header=BB26_48 Depth=3
	ds_load_b64 v[52:53], v35
	v_sub_f32_e32 v54, 0, v30
	s_wait_dscnt 0x0
	v_pk_mul_f32 v[56:57], v[28:29], v[52:53] op_sel:[0,1] op_sel_hi:[0,0]
	s_delay_alu instid0(VALU_DEP_1) | instskip(SKIP_1) | instid1(VALU_DEP_2)
	v_pk_fma_f32 v[58:59], v[54:55], v[52:53], v[56:57] op_sel_hi:[0,1,1] neg_lo:[0,0,1] neg_hi:[0,0,1]
	v_pk_fma_f32 v[52:53], v[54:55], v[52:53], v[56:57]
	v_mov_b32_e32 v53, v59
	ds_store_b64 v31, v[52:53]
.LBB26_50:                              ;   in Loop: Header=BB26_48 Depth=3
	s_or_b32 exec_lo, exec_lo, s47
	s_delay_alu instid0(SALU_CYCLE_1)
	s_mov_b32 s47, exec_lo
	v_cmpx_lt_i32_e64 s46, v4
	s_cbranch_execz .LBB26_47
; %bb.51:                               ;   in Loop: Header=BB26_48 Depth=3
	ds_load_b64 v[52:53], v33
	ds_load_b64 v[54:55], v32
	s_wait_dscnt 0x0
	v_dual_mul_f32 v56, v55, v53 :: v_dual_mul_f32 v53, v54, v53
	s_delay_alu instid0(VALU_DEP_1) | instskip(NEXT) | instid1(VALU_DEP_1)
	v_dual_fma_f32 v54, v54, v52, -v56 :: v_dual_fmac_f32 v53, v55, v52
	v_dual_add_f32 v30, v30, v54 :: v_dual_add_f32 v28, v28, v53
	s_branch .LBB26_47
.LBB26_52:                              ;   in Loop: Header=BB26_4 Depth=1
	s_or_b32 exec_lo, exec_lo, s7
	s_delay_alu instid0(SALU_CYCLE_1)
	s_and_b32 vcc_lo, exec_lo, s42
	s_wait_dscnt 0x0
	s_barrier_signal -1
	s_barrier_wait -1
	s_cbranch_vccz .LBB26_58
; %bb.53:                               ;   in Loop: Header=BB26_4 Depth=1
	s_mov_b32 s21, 0
	s_mov_b32 s7, 0
                                        ; implicit-def: $vgpr25
	s_and_saveexec_b32 s46, s1
	s_cbranch_execz .LBB26_57
; %bb.54:                               ;   in Loop: Header=BB26_4 Depth=1
	v_dual_mov_b32 v25, 0 :: v_dual_mov_b32 v29, v37
	v_dual_mov_b32 v30, v42 :: v_dual_mov_b32 v28, 0
	s_mov_b32 s47, -1
.LBB26_55:                              ;   Parent Loop BB26_4 Depth=1
                                        ; =>  This Inner Loop Header: Depth=2
	ds_load_b64 v[32:33], v29
	ds_load_b64 v[52:53], v30
	s_add_co_i32 s47, s47, 1
	v_add_nc_u32_e32 v29, 0x80, v29
	v_cmp_ge_u32_e32 vcc_lo, s47, v0
	s_or_b32 s7, vcc_lo, s7
	s_wait_dscnt 0x0
	v_dual_mul_f32 v31, v53, v33 :: v_dual_mul_f32 v33, v52, v33
	s_delay_alu instid0(VALU_DEP_1) | instskip(NEXT) | instid1(VALU_DEP_1)
	v_dual_fma_f32 v31, v52, v32, -v31 :: v_dual_fmac_f32 v33, v53, v32
	v_dual_add_nc_u32 v30, -8, v30 :: v_dual_add_f32 v28, v28, v31
	s_delay_alu instid0(VALU_DEP_2)
	v_add_f32_e32 v25, v25, v33
	s_and_not1_b32 exec_lo, exec_lo, s7
	s_cbranch_execnz .LBB26_55
; %bb.56:                               ;   in Loop: Header=BB26_4 Depth=1
	s_or_b32 exec_lo, exec_lo, s7
	v_add_nc_u32_e32 v29, v1, v38
	s_mov_b32 s7, exec_lo
	ds_store_b32 v29, v28
.LBB26_57:                              ;   in Loop: Header=BB26_4 Depth=1
	s_or_b32 exec_lo, exec_lo, s46
	s_delay_alu instid0(SALU_CYCLE_1)
	s_and_b32 vcc_lo, exec_lo, s21
	s_cbranch_vccnz .LBB26_59
	s_branch .LBB26_66
.LBB26_58:                              ;   in Loop: Header=BB26_4 Depth=1
	s_mov_b32 s7, 0
                                        ; implicit-def: $vgpr25
	s_cbranch_execz .LBB26_66
.LBB26_59:                              ;   in Loop: Header=BB26_4 Depth=1
                                        ; implicit-def: $vgpr25
	s_and_saveexec_b32 s21, s1
	s_cbranch_execz .LBB26_65
; %bb.60:                               ;   in Loop: Header=BB26_4 Depth=1
	v_dual_mov_b32 v25, 0 :: v_dual_mov_b32 v28, 0
	s_and_saveexec_b32 s46, s6
	s_cbranch_execz .LBB26_64
; %bb.61:                               ;   in Loop: Header=BB26_4 Depth=1
	v_dual_mov_b32 v25, 0 :: v_dual_mov_b32 v29, v45
	v_dual_mov_b32 v30, v44 :: v_dual_mov_b32 v31, v43
	v_mov_b32_e32 v28, 0
	s_mov_b32 s47, 0
.LBB26_62:                              ;   Parent Loop BB26_4 Depth=1
                                        ; =>  This Inner Loop Header: Depth=2
	ds_load_b64 v[32:33], v29
	ds_load_b64 v[52:53], v30
	s_wait_dscnt 0x0
	v_dual_add_nc_u32 v30, 8, v30 :: v_dual_mul_f32 v54, v53, v33
	v_dual_mul_f32 v33, v52, v33 :: v_dual_add_nc_u32 v31, 1, v31
	s_delay_alu instid0(VALU_DEP_1) | instskip(NEXT) | instid1(VALU_DEP_2)
	v_dual_fma_f32 v52, v52, v32, -v54 :: v_dual_fmac_f32 v33, v53, v32
	v_cmp_lt_u32_e32 vcc_lo, 14, v31
	s_delay_alu instid0(VALU_DEP_2) | instskip(NEXT) | instid1(VALU_DEP_3)
	v_dual_add_f32 v28, v28, v52 :: v_dual_add_nc_u32 v29, 0x80, v29
	v_add_f32_e32 v25, v25, v33
	s_or_b32 s47, vcc_lo, s47
	s_delay_alu instid0(SALU_CYCLE_1)
	s_and_not1_b32 exec_lo, exec_lo, s47
	s_cbranch_execnz .LBB26_62
; %bb.63:                               ;   in Loop: Header=BB26_4 Depth=1
	s_or_b32 exec_lo, exec_lo, s47
.LBB26_64:                              ;   in Loop: Header=BB26_4 Depth=1
	s_delay_alu instid0(SALU_CYCLE_1)
	s_or_b32 exec_lo, exec_lo, s46
	v_add_nc_u32_e32 v29, v1, v38
	s_or_b32 s7, s7, exec_lo
	ds_store_b32 v29, v28
.LBB26_65:                              ;   in Loop: Header=BB26_4 Depth=1
	s_or_b32 exec_lo, exec_lo, s21
.LBB26_66:                              ;   in Loop: Header=BB26_4 Depth=1
	s_and_saveexec_b32 s21, s7
; %bb.67:                               ;   in Loop: Header=BB26_4 Depth=1
	v_add_nc_u32_e32 v28, v1, v38
	ds_store_b32 v28, v25 offset:4
; %bb.68:                               ;   in Loop: Header=BB26_4 Depth=1
	s_or_b32 exec_lo, exec_lo, s21
	v_add_nc_u64_e32 v[28:29], s[16:17], v[26:27]
	s_and_b32 vcc_lo, exec_lo, s42
	s_wait_dscnt 0x0
	s_barrier_signal -1
	s_barrier_wait -1
	s_delay_alu instid0(VALU_DEP_1) | instskip(NEXT) | instid1(VALU_DEP_1)
	v_add_nc_u64_e32 v[28:29], s[34:35], v[28:29]
	v_add_nc_u64_e32 v[28:29], s[30:31], v[28:29]
	s_cbranch_vccz .LBB26_74
; %bb.69:                               ;   in Loop: Header=BB26_4 Depth=1
	s_mov_b32 s21, 0
	s_mov_b32 s7, 0
                                        ; implicit-def: $vgpr31
                                        ; implicit-def: $vgpr32_vgpr33
	s_and_saveexec_b32 s46, s1
	s_cbranch_execz .LBB26_73
; %bb.70:                               ;   in Loop: Header=BB26_4 Depth=1
	v_dual_mov_b32 v30, 0 :: v_dual_mov_b32 v25, v48
	v_dual_mov_b32 v32, v47 :: v_dual_mov_b32 v33, v46
	s_delay_alu instid0(VALU_DEP_2)
	v_mov_b32_e32 v31, v30
.LBB26_71:                              ;   Parent Loop BB26_4 Depth=1
                                        ; =>  This Inner Loop Header: Depth=2
	ds_load_b64 v[52:53], v25
	ds_load_b64 v[54:55], v32
	v_dual_add_nc_u32 v33, 1, v33 :: v_dual_add_nc_u32 v32, 8, v32
	v_add_nc_u32_e32 v25, s45, v25
	s_delay_alu instid0(VALU_DEP_2) | instskip(SKIP_3) | instid1(VALU_DEP_1)
	v_cmp_lt_u32_e32 vcc_lo, 14, v33
	s_or_b32 s7, vcc_lo, s7
	s_wait_dscnt 0x0
	v_pk_mul_f32 v[56:57], v[54:55], v[52:53] op_sel:[0,1] neg_lo:[0,1]
	v_pk_fma_f32 v[52:53], v[52:53], v[54:55], v[56:57] op_sel:[0,0,1] op_sel_hi:[0,1,0] neg_lo:[1,0,0] neg_hi:[1,0,0]
	s_delay_alu instid0(VALU_DEP_1)
	v_pk_add_f32 v[30:31], v[30:31], v[52:53]
	s_and_not1_b32 exec_lo, exec_lo, s7
	s_cbranch_execnz .LBB26_71
; %bb.72:                               ;   in Loop: Header=BB26_4 Depth=1
	s_or_b32 exec_lo, exec_lo, s7
	s_lshl_b64 s[48:49], s[12:13], 3
	v_mov_b32_e32 v25, v3
	v_add_nc_u64_e32 v[32:33], s[48:49], v[28:29]
	s_mov_b32 s7, exec_lo
	s_delay_alu instid0(VALU_DEP_1) | instskip(NEXT) | instid1(VALU_DEP_1)
	v_add_nc_u64_e32 v[32:33], v[32:33], v[24:25]
	v_lshl_add_u64 v[32:33], v[12:13], 3, v[32:33]
	flat_store_b32 v[32:33], v30
.LBB26_73:                              ;   in Loop: Header=BB26_4 Depth=1
	s_wait_xcnt 0x0
	s_or_b32 exec_lo, exec_lo, s46
	s_delay_alu instid0(SALU_CYCLE_1)
	s_and_b32 vcc_lo, exec_lo, s21
	s_cbranch_vccnz .LBB26_75
	s_branch .LBB26_80
.LBB26_74:                              ;   in Loop: Header=BB26_4 Depth=1
	s_mov_b32 s7, 0
                                        ; implicit-def: $vgpr31
                                        ; implicit-def: $vgpr32_vgpr33
	s_cbranch_execz .LBB26_80
.LBB26_75:                              ;   in Loop: Header=BB26_4 Depth=1
                                        ; implicit-def: $vgpr31
                                        ; implicit-def: $vgpr32_vgpr33
	s_and_saveexec_b32 s21, s1
	s_cbranch_execz .LBB26_79
; %bb.76:                               ;   in Loop: Header=BB26_4 Depth=1
	v_dual_mov_b32 v30, 0 :: v_dual_mov_b32 v25, v50
	v_mov_b32_e32 v32, v49
	s_mov_b32 s47, -1
	s_mov_b32 s46, 0
	s_delay_alu instid0(VALU_DEP_2)
	v_mov_b32_e32 v31, v30
.LBB26_77:                              ;   Parent Loop BB26_4 Depth=1
                                        ; =>  This Inner Loop Header: Depth=2
	ds_load_b64 v[52:53], v25
	ds_load_b64 v[54:55], v32
	s_add_co_i32 s47, s47, 1
	v_dual_add_nc_u32 v32, 8, v32 :: v_dual_add_nc_u32 v25, s20, v25
	v_cmp_ge_u32_e32 vcc_lo, s47, v10
	s_or_b32 s46, vcc_lo, s46
	s_wait_dscnt 0x0
	v_pk_mul_f32 v[56:57], v[54:55], v[52:53] op_sel:[0,1] neg_lo:[0,1]
	s_delay_alu instid0(VALU_DEP_1) | instskip(NEXT) | instid1(VALU_DEP_1)
	v_pk_fma_f32 v[52:53], v[52:53], v[54:55], v[56:57] op_sel:[0,0,1] op_sel_hi:[0,1,0] neg_lo:[1,0,0] neg_hi:[1,0,0]
	v_pk_add_f32 v[30:31], v[30:31], v[52:53]
	s_and_not1_b32 exec_lo, exec_lo, s46
	s_cbranch_execnz .LBB26_77
; %bb.78:                               ;   in Loop: Header=BB26_4 Depth=1
	s_or_b32 exec_lo, exec_lo, s46
	v_lshl_add_u64 v[32:33], v[12:13], 3, v[28:29]
	s_or_b32 s7, s7, exec_lo
	s_delay_alu instid0(VALU_DEP_1)
	v_add_nc_u64_e32 v[32:33], v[32:33], v[2:3]
	flat_store_b32 v[32:33], v30
.LBB26_79:                              ;   in Loop: Header=BB26_4 Depth=1
	s_wait_xcnt 0x0
	s_or_b32 exec_lo, exec_lo, s21
.LBB26_80:                              ;   in Loop: Header=BB26_4 Depth=1
	s_and_saveexec_b32 s21, s7
	s_cbranch_execz .LBB26_82
; %bb.81:                               ;   in Loop: Header=BB26_4 Depth=1
	flat_store_b32 v[32:33], v31 offset:4
.LBB26_82:                              ;   in Loop: Header=BB26_4 Depth=1
	s_wait_xcnt 0x0
	s_or_b32 exec_lo, exec_lo, s21
	s_and_saveexec_b32 s7, s2
	s_cbranch_execz .LBB26_2
; %bb.83:                               ;   in Loop: Header=BB26_4 Depth=1
	s_and_b32 vcc_lo, exec_lo, s42
	s_mov_b32 s21, -1
	s_cbranch_vccz .LBB26_88
; %bb.84:                               ;   in Loop: Header=BB26_4 Depth=1
	s_and_saveexec_b32 s21, s4
	s_cbranch_execz .LBB26_87
; %bb.85:                               ;   in Loop: Header=BB26_4 Depth=1
	v_add_nc_u64_e32 v[26:27], v[26:27], v[20:21]
	v_mov_b32_e32 v25, v39
	s_mov_b32 s46, 0
	s_mov_b32 s47, s18
.LBB26_86:                              ;   Parent Loop BB26_4 Depth=1
                                        ; =>  This Inner Loop Header: Depth=2
	ds_load_b64 v[30:31], v25
	s_add_co_i32 s47, s47, -1
	v_add_nc_u32_e32 v25, s20, v25
	v_cmp_le_i32_e32 vcc_lo, s47, v4
	s_or_b32 s46, vcc_lo, s46
	s_wait_dscnt 0x0
	flat_store_b64 v[26:27], v[30:31]
	s_wait_xcnt 0x0
	v_add_nc_u64_e32 v[26:27], s[38:39], v[26:27]
	s_and_not1_b32 exec_lo, exec_lo, s46
	s_cbranch_execnz .LBB26_86
.LBB26_87:                              ;   in Loop: Header=BB26_4 Depth=1
	s_or_b32 exec_lo, exec_lo, s21
	s_mov_b32 s21, 0
.LBB26_88:                              ;   in Loop: Header=BB26_4 Depth=1
	s_delay_alu instid0(SALU_CYCLE_1)
	s_and_not1_b32 vcc_lo, exec_lo, s21
	s_cbranch_vccnz .LBB26_2
; %bb.89:                               ;   in Loop: Header=BB26_4 Depth=1
	s_and_b32 exec_lo, exec_lo, s5
	s_cbranch_execz .LBB26_2
; %bb.90:                               ;   in Loop: Header=BB26_4 Depth=1
	v_lshl_add_u64 v[26:27], v[6:7], 3, v[28:29]
	v_dual_mov_b32 v25, v34 :: v_dual_mov_b32 v28, v51
	s_mov_b32 s21, 0
	s_delay_alu instid0(VALU_DEP_2)
	v_lshl_add_u64 v[26:27], v[4:5], 3, v[26:27]
.LBB26_91:                              ;   Parent Loop BB26_4 Depth=1
                                        ; =>  This Inner Loop Header: Depth=2
	ds_load_b64 v[30:31], v25
	v_dual_add_nc_u32 v28, -1, v28 :: v_dual_add_nc_u32 v25, s20, v25
	s_delay_alu instid0(VALU_DEP_1)
	v_cmp_eq_u32_e32 vcc_lo, 0, v28
	s_or_b32 s21, vcc_lo, s21
	s_wait_dscnt 0x0
	flat_store_b64 v[26:27], v[30:31]
	s_wait_xcnt 0x0
	v_add_nc_u64_e32 v[26:27], s[36:37], v[26:27]
	s_and_not1_b32 exec_lo, exec_lo, s21
	s_cbranch_execnz .LBB26_91
	s_branch .LBB26_2
.LBB26_92:
	s_endpgm
	.section	.rodata,"a",@progbits
	.p2align	6, 0x0
	.amdhsa_kernel _ZL29rocblas_trtri_diagonal_kernelILi16E19rocblas_complex_numIfEPKPKS1_PKPS1_Ev13rocblas_fill_17rocblas_diagonal_iT1_lillT2_lilli
		.amdhsa_group_segment_fixed_size 8192
		.amdhsa_private_segment_fixed_size 0
		.amdhsa_kernarg_size 100
		.amdhsa_user_sgpr_count 2
		.amdhsa_user_sgpr_dispatch_ptr 0
		.amdhsa_user_sgpr_queue_ptr 0
		.amdhsa_user_sgpr_kernarg_segment_ptr 1
		.amdhsa_user_sgpr_dispatch_id 0
		.amdhsa_user_sgpr_kernarg_preload_length 0
		.amdhsa_user_sgpr_kernarg_preload_offset 0
		.amdhsa_user_sgpr_private_segment_size 0
		.amdhsa_wavefront_size32 1
		.amdhsa_uses_dynamic_stack 0
		.amdhsa_enable_private_segment 0
		.amdhsa_system_sgpr_workgroup_id_x 1
		.amdhsa_system_sgpr_workgroup_id_y 0
		.amdhsa_system_sgpr_workgroup_id_z 1
		.amdhsa_system_sgpr_workgroup_info 0
		.amdhsa_system_vgpr_workitem_id 0
		.amdhsa_next_free_vgpr 60
		.amdhsa_next_free_sgpr 50
		.amdhsa_named_barrier_count 0
		.amdhsa_reserve_vcc 1
		.amdhsa_float_round_mode_32 0
		.amdhsa_float_round_mode_16_64 0
		.amdhsa_float_denorm_mode_32 3
		.amdhsa_float_denorm_mode_16_64 3
		.amdhsa_fp16_overflow 0
		.amdhsa_memory_ordered 1
		.amdhsa_forward_progress 1
		.amdhsa_inst_pref_size 29
		.amdhsa_round_robin_scheduling 0
		.amdhsa_exception_fp_ieee_invalid_op 0
		.amdhsa_exception_fp_denorm_src 0
		.amdhsa_exception_fp_ieee_div_zero 0
		.amdhsa_exception_fp_ieee_overflow 0
		.amdhsa_exception_fp_ieee_underflow 0
		.amdhsa_exception_fp_ieee_inexact 0
		.amdhsa_exception_int_div_zero 0
	.end_amdhsa_kernel
	.section	.text._ZL29rocblas_trtri_diagonal_kernelILi16E19rocblas_complex_numIfEPKPKS1_PKPS1_Ev13rocblas_fill_17rocblas_diagonal_iT1_lillT2_lilli,"axG",@progbits,_ZL29rocblas_trtri_diagonal_kernelILi16E19rocblas_complex_numIfEPKPKS1_PKPS1_Ev13rocblas_fill_17rocblas_diagonal_iT1_lillT2_lilli,comdat
.Lfunc_end26:
	.size	_ZL29rocblas_trtri_diagonal_kernelILi16E19rocblas_complex_numIfEPKPKS1_PKPS1_Ev13rocblas_fill_17rocblas_diagonal_iT1_lillT2_lilli, .Lfunc_end26-_ZL29rocblas_trtri_diagonal_kernelILi16E19rocblas_complex_numIfEPKPKS1_PKPS1_Ev13rocblas_fill_17rocblas_diagonal_iT1_lillT2_lilli
                                        ; -- End function
	.set _ZL29rocblas_trtri_diagonal_kernelILi16E19rocblas_complex_numIfEPKPKS1_PKPS1_Ev13rocblas_fill_17rocblas_diagonal_iT1_lillT2_lilli.num_vgpr, 60
	.set _ZL29rocblas_trtri_diagonal_kernelILi16E19rocblas_complex_numIfEPKPKS1_PKPS1_Ev13rocblas_fill_17rocblas_diagonal_iT1_lillT2_lilli.num_agpr, 0
	.set _ZL29rocblas_trtri_diagonal_kernelILi16E19rocblas_complex_numIfEPKPKS1_PKPS1_Ev13rocblas_fill_17rocblas_diagonal_iT1_lillT2_lilli.numbered_sgpr, 50
	.set _ZL29rocblas_trtri_diagonal_kernelILi16E19rocblas_complex_numIfEPKPKS1_PKPS1_Ev13rocblas_fill_17rocblas_diagonal_iT1_lillT2_lilli.num_named_barrier, 0
	.set _ZL29rocblas_trtri_diagonal_kernelILi16E19rocblas_complex_numIfEPKPKS1_PKPS1_Ev13rocblas_fill_17rocblas_diagonal_iT1_lillT2_lilli.private_seg_size, 0
	.set _ZL29rocblas_trtri_diagonal_kernelILi16E19rocblas_complex_numIfEPKPKS1_PKPS1_Ev13rocblas_fill_17rocblas_diagonal_iT1_lillT2_lilli.uses_vcc, 1
	.set _ZL29rocblas_trtri_diagonal_kernelILi16E19rocblas_complex_numIfEPKPKS1_PKPS1_Ev13rocblas_fill_17rocblas_diagonal_iT1_lillT2_lilli.uses_flat_scratch, 0
	.set _ZL29rocblas_trtri_diagonal_kernelILi16E19rocblas_complex_numIfEPKPKS1_PKPS1_Ev13rocblas_fill_17rocblas_diagonal_iT1_lillT2_lilli.has_dyn_sized_stack, 0
	.set _ZL29rocblas_trtri_diagonal_kernelILi16E19rocblas_complex_numIfEPKPKS1_PKPS1_Ev13rocblas_fill_17rocblas_diagonal_iT1_lillT2_lilli.has_recursion, 0
	.set _ZL29rocblas_trtri_diagonal_kernelILi16E19rocblas_complex_numIfEPKPKS1_PKPS1_Ev13rocblas_fill_17rocblas_diagonal_iT1_lillT2_lilli.has_indirect_call, 0
	.section	.AMDGPU.csdata,"",@progbits
; Kernel info:
; codeLenInByte = 3708
; TotalNumSgprs: 52
; NumVgprs: 60
; ScratchSize: 0
; MemoryBound: 0
; FloatMode: 240
; IeeeMode: 1
; LDSByteSize: 8192 bytes/workgroup (compile time only)
; SGPRBlocks: 0
; VGPRBlocks: 3
; NumSGPRsForWavesPerEU: 52
; NumVGPRsForWavesPerEU: 60
; NamedBarCnt: 0
; Occupancy: 16
; WaveLimiterHint : 1
; COMPUTE_PGM_RSRC2:SCRATCH_EN: 0
; COMPUTE_PGM_RSRC2:USER_SGPR: 2
; COMPUTE_PGM_RSRC2:TRAP_HANDLER: 0
; COMPUTE_PGM_RSRC2:TGID_X_EN: 1
; COMPUTE_PGM_RSRC2:TGID_Y_EN: 0
; COMPUTE_PGM_RSRC2:TGID_Z_EN: 1
; COMPUTE_PGM_RSRC2:TIDIG_COMP_CNT: 0
	.section	.text._ZL30rocblas_trtri_remainder_kernelILi16E19rocblas_complex_numIfEPKPKS1_PKPS1_Ev13rocblas_fill_17rocblas_diagonal_iT1_lillT2_lilli,"axG",@progbits,_ZL30rocblas_trtri_remainder_kernelILi16E19rocblas_complex_numIfEPKPKS1_PKPS1_Ev13rocblas_fill_17rocblas_diagonal_iT1_lillT2_lilli,comdat
	.globl	_ZL30rocblas_trtri_remainder_kernelILi16E19rocblas_complex_numIfEPKPKS1_PKPS1_Ev13rocblas_fill_17rocblas_diagonal_iT1_lillT2_lilli ; -- Begin function _ZL30rocblas_trtri_remainder_kernelILi16E19rocblas_complex_numIfEPKPKS1_PKPS1_Ev13rocblas_fill_17rocblas_diagonal_iT1_lillT2_lilli
	.p2align	8
	.type	_ZL30rocblas_trtri_remainder_kernelILi16E19rocblas_complex_numIfEPKPKS1_PKPS1_Ev13rocblas_fill_17rocblas_diagonal_iT1_lillT2_lilli,@function
_ZL30rocblas_trtri_remainder_kernelILi16E19rocblas_complex_numIfEPKPKS1_PKPS1_Ev13rocblas_fill_17rocblas_diagonal_iT1_lillT2_lilli: ; @_ZL30rocblas_trtri_remainder_kernelILi16E19rocblas_complex_numIfEPKPKS1_PKPS1_Ev13rocblas_fill_17rocblas_diagonal_iT1_lillT2_lilli
; %bb.0:
	s_load_b32 s15, s[0:1], 0x60
	s_bfe_u32 s2, ttmp6, 0x40014
	s_lshr_b32 s3, ttmp7, 16
	s_add_co_i32 s2, s2, 1
	s_bfe_u32 s4, ttmp6, 0x40008
	s_mul_i32 s2, s3, s2
	s_getreg_b32 s19, hwreg(HW_REG_IB_STS2, 6, 4)
	s_add_co_i32 s4, s4, s2
	s_cmp_eq_u32 s19, 0
	s_cselect_b32 s2, s3, s4
	s_mov_b32 s3, 0
	s_wait_kmcnt 0x0
	s_cmp_ge_u32 s2, s15
	s_cbranch_scc1 .LBB27_45
; %bb.1:
	s_clause 0x5
	s_load_b32 s20, s[0:1], 0x20
	s_load_b96 s[16:18], s[0:1], 0x40
	s_load_b96 s[12:14], s[0:1], 0x0
	s_load_b128 s[4:7], s[0:1], 0x30
	s_load_b128 s[8:11], s[0:1], 0x10
	s_load_b64 s[22:23], s[0:1], 0x58
	s_wait_xcnt 0x0
	s_bfe_u32 s1, ttmp6, 0x4000c
	s_and_b32 s0, ttmp6, 15
	s_add_co_i32 s1, s1, 1
	s_mov_b32 s25, s3
	s_mul_i32 s1, ttmp9, s1
	s_mov_b32 s31, s3
	s_add_co_i32 s1, s0, s1
	v_mov_b64_e32 v[10:11], 0x3f800000
	v_dual_add_nc_u32 v19, 1, v0 :: v_dual_lshlrev_b32 v4, 3, v0
	s_wait_kmcnt 0x0
	s_ashr_i32 s21, s20, 31
	s_ashr_i32 s35, s18, 31
	s_cmp_eq_u32 s19, 0
	s_mov_b32 s34, s18
	s_cselect_b32 s24, ttmp9, s1
	s_cmp_gt_i32 s14, 0
	s_mul_u64 s[4:5], s[4:5], s[24:25]
	s_cselect_b32 s26, -1, 0
	s_cmp_lg_u32 s12, 0x7a
	v_mul_lo_u32 v2, v0, s14
	s_cselect_b32 s27, -1, 0
	s_add_co_i32 s30, s14, -1
	s_delay_alu instid0(SALU_CYCLE_1)
	v_dual_mov_b32 v3, 0 :: v_dual_sub_nc_u32 v1, s30, v0
	s_cmp_lg_u32 s13, 0x84
	s_mul_u64 s[12:13], s[20:21], s[30:31]
	s_cselect_b32 s28, -1, 0
	s_lshl_b64 s[4:5], s[4:5], 3
	s_lshl_b64 s[12:13], s[12:13], 3
	v_dual_lshlrev_b32 v1, 3, v1 :: v_dual_mov_b32 v5, v3
	s_add_nc_u64 s[12:13], s[4:5], s[12:13]
	s_lshl_b64 s[10:11], s[10:11], 3
	s_mul_u64 s[18:19], s[22:23], s[24:25]
	s_add_nc_u64 s[12:13], s[12:13], s[10:11]
	s_lshl_b64 s[18:19], s[18:19], 3
	v_add_nc_u64_e32 v[6:7], s[12:13], v[4:5]
	s_lshl_b64 s[12:13], s[20:21], 3
	s_mul_u64 s[20:21], s[34:35], s[30:31]
	s_lshl_b64 s[16:17], s[16:17], 3
	s_lshl_b64 s[22:23], s[20:21], 3
	s_lshl_b32 s29, s14, 3
	s_add_nc_u64 s[22:23], s[18:19], s[22:23]
	v_cmp_gt_u32_e64 s0, s14, v0
	s_add_nc_u64 s[22:23], s[22:23], s[16:17]
	v_add_lshl_u32 v18, v2, v0, 3
	v_add_nc_u64_e32 v[8:9], s[22:23], v[4:5]
	v_add_nc_u32_e32 v20, s29, v4
	v_lshlrev_b32_e32 v2, 3, v0
	s_lshl_b64 s[22:23], s[34:35], 3
	s_sub_nc_u64 s[20:21], 0, s[12:13]
	s_add_co_i32 s30, s29, 8
	s_sub_nc_u64 s[24:25], 0, s[22:23]
	s_branch .LBB27_4
.LBB27_2:                               ;   in Loop: Header=BB27_4 Depth=1
	s_or_b32 exec_lo, exec_lo, s1
.LBB27_3:                               ;   in Loop: Header=BB27_4 Depth=1
	s_add_co_i32 s2, s2, 0x10000
	s_delay_alu instid0(SALU_CYCLE_1)
	s_cmp_lt_u32 s2, s15
	s_cbranch_scc0 .LBB27_45
.LBB27_4:                               ; =>This Loop Header: Depth=1
                                        ;     Child Loop BB27_8 Depth 2
                                        ;     Child Loop BB27_12 Depth 2
	;; [unrolled: 1-line block ×3, first 2 shown]
                                        ;       Child Loop BB27_33 Depth 3
                                        ;     Child Loop BB27_40 Depth 2
                                        ;     Child Loop BB27_44 Depth 2
	s_and_not1_b32 vcc_lo, exec_lo, s26
	s_cbranch_vccnz .LBB27_3
; %bb.5:                                ;   in Loop: Header=BB27_4 Depth=1
	v_mov_b32_e32 v5, s2
	global_load_b64 v[12:13], v5, s[6:7] scale_offset
	s_wait_xcnt 0x0
	s_and_saveexec_b32 s1, s0
	s_cbranch_execz .LBB27_13
; %bb.6:                                ;   in Loop: Header=BB27_4 Depth=1
	s_lshl_b64 s[34:35], s[2:3], 3
	s_and_not1_b32 vcc_lo, exec_lo, s27
	s_add_nc_u64 s[34:35], s[8:9], s[34:35]
	s_mov_b32 s31, -1
	global_load_b64 v[14:15], v3, s[34:35]
	s_cbranch_vccnz .LBB27_10
; %bb.7:                                ;   in Loop: Header=BB27_4 Depth=1
	s_wait_loadcnt 0x0
	v_add_nc_u64_e32 v[16:17], v[14:15], v[6:7]
	v_mov_b32_e32 v5, v1
	s_mov_b32 s31, 0
	s_mov_b32 s33, s14
.LBB27_8:                               ;   Parent Loop BB27_4 Depth=1
                                        ; =>  This Inner Loop Header: Depth=2
	flat_load_b64 v[22:23], v[16:17]
	s_add_co_i32 s33, s33, -1
	s_wait_xcnt 0x0
	v_add_nc_u64_e32 v[16:17], s[20:21], v[16:17]
	v_cmp_le_u32_e32 vcc_lo, s33, v0
	s_or_b32 s31, vcc_lo, s31
	s_wait_loadcnt_dscnt 0x0
	ds_store_b64 v5, v[22:23]
	v_add_nc_u32_e32 v5, s29, v5
	s_and_not1_b32 exec_lo, exec_lo, s31
	s_cbranch_execnz .LBB27_8
; %bb.9:                                ;   in Loop: Header=BB27_4 Depth=1
	s_or_b32 exec_lo, exec_lo, s31
	s_mov_b32 s31, 0
.LBB27_10:                              ;   in Loop: Header=BB27_4 Depth=1
	s_delay_alu instid0(SALU_CYCLE_1)
	s_and_b32 vcc_lo, exec_lo, s31
	s_cbranch_vccz .LBB27_13
; %bb.11:                               ;   in Loop: Header=BB27_4 Depth=1
	s_wait_loadcnt 0x0
	v_add_nc_u64_e32 v[14:15], s[10:11], v[14:15]
	v_dual_mov_b32 v5, v4 :: v_dual_mov_b32 v16, v19
	s_mov_b32 s31, 0
	s_delay_alu instid0(VALU_DEP_2) | instskip(NEXT) | instid1(VALU_DEP_1)
	v_add_nc_u64_e32 v[14:15], s[4:5], v[14:15]
	v_add_nc_u64_e32 v[14:15], v[14:15], v[2:3]
.LBB27_12:                              ;   Parent Loop BB27_4 Depth=1
                                        ; =>  This Inner Loop Header: Depth=2
	flat_load_b64 v[22:23], v[14:15]
	v_add_nc_u32_e32 v16, -1, v16
	s_wait_xcnt 0x0
	v_add_nc_u64_e32 v[14:15], s[12:13], v[14:15]
	s_wait_loadcnt_dscnt 0x0
	ds_store_b64 v5, v[22:23]
	v_add_nc_u32_e32 v5, s29, v5
	v_cmp_eq_u32_e32 vcc_lo, 0, v16
	s_or_b32 s31, vcc_lo, s31
	s_delay_alu instid0(SALU_CYCLE_1)
	s_and_not1_b32 exec_lo, exec_lo, s31
	s_cbranch_execnz .LBB27_12
.LBB27_13:                              ;   in Loop: Header=BB27_4 Depth=1
	s_wait_xcnt 0x0
	s_or_b32 exec_lo, exec_lo, s1
	s_wait_loadcnt_dscnt 0x0
	s_barrier_signal -1
	s_barrier_wait -1
	s_and_saveexec_b32 s31, s0
	s_cbranch_execz .LBB27_26
; %bb.14:                               ;   in Loop: Header=BB27_4 Depth=1
	s_and_b32 vcc_lo, exec_lo, s28
	s_mov_b32 s1, -1
	s_cbranch_vccz .LBB27_24
; %bb.15:                               ;   in Loop: Header=BB27_4 Depth=1
	ds_load_b64 v[14:15], v18
	s_wait_dscnt 0x0
	v_cmp_neq_f32_e32 vcc_lo, 0, v14
	v_cmp_neq_f32_e64 s1, 0, v15
	s_or_b32 s1, vcc_lo, s1
	s_delay_alu instid0(SALU_CYCLE_1) | instskip(NEXT) | instid1(SALU_CYCLE_1)
	s_and_saveexec_b32 s33, s1
	s_xor_b32 s1, exec_lo, s33
	s_cbranch_execz .LBB27_21
; %bb.16:                               ;   in Loop: Header=BB27_4 Depth=1
	v_cmp_ngt_f32_e64 s33, |v14|, |v15|
                                        ; implicit-def: $vgpr16_vgpr17
	s_and_saveexec_b32 s34, s33
	s_delay_alu instid0(SALU_CYCLE_1)
	s_xor_b32 s33, exec_lo, s34
	s_cbranch_execz .LBB27_18
; %bb.17:                               ;   in Loop: Header=BB27_4 Depth=1
	v_div_scale_f32 v5, null, v15, v15, v14
	v_div_scale_f32 v21, vcc_lo, v14, v15, v14
	s_delay_alu instid0(VALU_DEP_2) | instskip(SKIP_1) | instid1(TRANS32_DEP_1)
	v_rcp_f32_e32 v16, v5
	v_nop
	v_fma_f32 v17, -v5, v16, 1.0
	s_delay_alu instid0(VALU_DEP_1) | instskip(NEXT) | instid1(VALU_DEP_1)
	v_fmac_f32_e32 v16, v17, v16
	v_mul_f32_e32 v17, v21, v16
	s_delay_alu instid0(VALU_DEP_1) | instskip(NEXT) | instid1(VALU_DEP_1)
	v_fma_f32 v22, -v5, v17, v21
	v_fmac_f32_e32 v17, v22, v16
	s_delay_alu instid0(VALU_DEP_1) | instskip(NEXT) | instid1(VALU_DEP_1)
	v_fma_f32 v5, -v5, v17, v21
	v_div_fmas_f32 v5, v5, v16, v17
	s_delay_alu instid0(VALU_DEP_1) | instskip(NEXT) | instid1(VALU_DEP_1)
	v_div_fixup_f32 v5, v5, v15, v14
	v_fmac_f32_e32 v15, v14, v5
	s_delay_alu instid0(VALU_DEP_1) | instskip(SKIP_1) | instid1(VALU_DEP_2)
	v_div_scale_f32 v14, null, v15, v15, 1.0
	v_div_scale_f32 v21, vcc_lo, 1.0, v15, 1.0
	v_rcp_f32_e32 v16, v14
	v_nop
	s_delay_alu instid0(TRANS32_DEP_1) | instskip(NEXT) | instid1(VALU_DEP_1)
	v_fma_f32 v17, -v14, v16, 1.0
	v_fmac_f32_e32 v16, v17, v16
	s_delay_alu instid0(VALU_DEP_1) | instskip(NEXT) | instid1(VALU_DEP_1)
	v_mul_f32_e32 v17, v21, v16
	v_fma_f32 v22, -v14, v17, v21
	s_delay_alu instid0(VALU_DEP_1) | instskip(NEXT) | instid1(VALU_DEP_1)
	v_fmac_f32_e32 v17, v22, v16
	v_fma_f32 v14, -v14, v17, v21
	s_delay_alu instid0(VALU_DEP_1) | instskip(NEXT) | instid1(VALU_DEP_1)
	v_div_fmas_f32 v14, v14, v16, v17
	v_div_fixup_f32 v14, v14, v15, 1.0
	s_delay_alu instid0(VALU_DEP_1)
	v_mul_f32_e32 v16, v5, v14
	v_xor_b32_e32 v17, 0x80000000, v14
                                        ; implicit-def: $vgpr14_vgpr15
.LBB27_18:                              ;   in Loop: Header=BB27_4 Depth=1
	s_and_not1_saveexec_b32 s33, s33
	s_cbranch_execz .LBB27_20
; %bb.19:                               ;   in Loop: Header=BB27_4 Depth=1
	v_div_scale_f32 v5, null, v14, v14, v15
	v_div_scale_f32 v21, vcc_lo, v15, v14, v15
	s_delay_alu instid0(VALU_DEP_2) | instskip(SKIP_1) | instid1(TRANS32_DEP_1)
	v_rcp_f32_e32 v16, v5
	v_nop
	v_fma_f32 v17, -v5, v16, 1.0
	s_delay_alu instid0(VALU_DEP_1) | instskip(NEXT) | instid1(VALU_DEP_1)
	v_fmac_f32_e32 v16, v17, v16
	v_mul_f32_e32 v17, v21, v16
	s_delay_alu instid0(VALU_DEP_1) | instskip(NEXT) | instid1(VALU_DEP_1)
	v_fma_f32 v22, -v5, v17, v21
	v_fmac_f32_e32 v17, v22, v16
	s_delay_alu instid0(VALU_DEP_1) | instskip(NEXT) | instid1(VALU_DEP_1)
	v_fma_f32 v5, -v5, v17, v21
	v_div_fmas_f32 v5, v5, v16, v17
	s_delay_alu instid0(VALU_DEP_1) | instskip(NEXT) | instid1(VALU_DEP_1)
	v_div_fixup_f32 v5, v5, v14, v15
	v_fmac_f32_e32 v14, v15, v5
	s_delay_alu instid0(VALU_DEP_1) | instskip(NEXT) | instid1(VALU_DEP_1)
	v_div_scale_f32 v15, null, v14, v14, 1.0
	v_rcp_f32_e32 v16, v15
	v_nop
	s_delay_alu instid0(TRANS32_DEP_1) | instskip(NEXT) | instid1(VALU_DEP_1)
	v_fma_f32 v17, -v15, v16, 1.0
	v_fmac_f32_e32 v16, v17, v16
	v_div_scale_f32 v17, vcc_lo, 1.0, v14, 1.0
	s_delay_alu instid0(VALU_DEP_1) | instskip(NEXT) | instid1(VALU_DEP_1)
	v_mul_f32_e32 v21, v17, v16
	v_fma_f32 v22, -v15, v21, v17
	s_delay_alu instid0(VALU_DEP_1) | instskip(NEXT) | instid1(VALU_DEP_1)
	v_fmac_f32_e32 v21, v22, v16
	v_fma_f32 v15, -v15, v21, v17
	s_delay_alu instid0(VALU_DEP_1) | instskip(NEXT) | instid1(VALU_DEP_1)
	v_div_fmas_f32 v15, v15, v16, v21
	v_div_fixup_f32 v16, v15, v14, 1.0
	s_delay_alu instid0(VALU_DEP_1)
	v_mul_f32_e64 v17, v5, -v16
.LBB27_20:                              ;   in Loop: Header=BB27_4 Depth=1
	s_or_b32 exec_lo, exec_lo, s33
	ds_store_b64 v18, v[16:17]
.LBB27_21:                              ;   in Loop: Header=BB27_4 Depth=1
	s_and_not1_saveexec_b32 s1, s1
; %bb.22:                               ;   in Loop: Header=BB27_4 Depth=1
	ds_store_b64 v18, v[10:11]
; %bb.23:                               ;   in Loop: Header=BB27_4 Depth=1
	s_or_b32 exec_lo, exec_lo, s1
	s_mov_b32 s1, 0
.LBB27_24:                              ;   in Loop: Header=BB27_4 Depth=1
	s_delay_alu instid0(SALU_CYCLE_1)
	s_and_not1_b32 vcc_lo, exec_lo, s1
	s_cbranch_vccnz .LBB27_26
; %bb.25:                               ;   in Loop: Header=BB27_4 Depth=1
	ds_store_b64 v18, v[10:11]
.LBB27_26:                              ;   in Loop: Header=BB27_4 Depth=1
	s_or_b32 exec_lo, exec_lo, s31
	v_mov_b32_e32 v5, v20
	s_mov_b32 s1, 0
	s_mov_b32 s31, 8
	s_wait_dscnt 0x0
	s_barrier_signal -1
	s_barrier_wait -1
	s_branch .LBB27_28
.LBB27_27:                              ;   in Loop: Header=BB27_28 Depth=2
	v_add_nc_u32_e32 v5, s29, v5
	s_add_co_i32 s31, s31, s30
	s_cmp_eq_u32 s1, s14
	s_barrier_signal -1
	s_barrier_wait -1
	s_cbranch_scc1 .LBB27_37
.LBB27_28:                              ;   Parent Loop BB27_4 Depth=1
                                        ; =>  This Loop Header: Depth=2
                                        ;       Child Loop BB27_33 Depth 3
	v_dual_mov_b32 v15, 0 :: v_dual_mov_b32 v14, 0
	s_mul_i32 s33, s1, s14
	s_mov_b32 s34, exec_lo
	v_cmpx_lt_u32_e64 s1, v0
	s_cbranch_execz .LBB27_30
; %bb.29:                               ;   in Loop: Header=BB27_28 Depth=2
	s_lshl_b32 s35, s33, 3
	s_lshl_b32 s36, s1, 3
	s_delay_alu instid0(SALU_CYCLE_1) | instskip(NEXT) | instid1(SALU_CYCLE_1)
	s_add_co_i32 s36, s36, s35
	v_dual_add_nc_u32 v14, s35, v4 :: v_dual_mov_b32 v16, s36
	ds_load_b64 v[14:15], v14
	ds_load_b64 v[16:17], v16
	s_wait_dscnt 0x0
	v_dual_mul_f32 v21, v17, v15 :: v_dual_mul_f32 v22, v16, v15
	s_delay_alu instid0(VALU_DEP_1) | instskip(NEXT) | instid1(VALU_DEP_1)
	v_dual_fma_f32 v15, v16, v14, -v21 :: v_dual_fmac_f32 v22, v17, v14
	v_dual_add_f32 v15, 0, v15 :: v_dual_add_f32 v14, 0, v22
.LBB27_30:                              ;   in Loop: Header=BB27_28 Depth=2
	s_or_b32 exec_lo, exec_lo, s34
	s_add_co_i32 s1, s1, 1
	s_delay_alu instid0(SALU_CYCLE_1)
	s_cmp_ge_i32 s1, s14
	s_barrier_signal -1
	s_barrier_wait -1
	s_cbranch_scc1 .LBB27_27
; %bb.31:                               ;   in Loop: Header=BB27_28 Depth=2
	v_lshl_add_u32 v16, s33, 3, v4
	v_mov_b32_e32 v17, v5
	s_mov_b32 s33, s31
	s_mov_b32 s34, s1
	s_branch .LBB27_33
.LBB27_32:                              ;   in Loop: Header=BB27_33 Depth=3
	s_or_b32 exec_lo, exec_lo, s35
	v_add_nc_u32_e32 v17, s29, v17
	s_add_co_i32 s34, s34, 1
	s_add_co_i32 s33, s33, 8
	s_cmp_eq_u32 s14, s34
	s_barrier_signal -1
	s_barrier_wait -1
	s_cbranch_scc1 .LBB27_27
.LBB27_33:                              ;   Parent Loop BB27_4 Depth=1
                                        ;     Parent Loop BB27_28 Depth=2
                                        ; =>    This Inner Loop Header: Depth=3
	s_mov_b32 s35, exec_lo
	v_cmpx_eq_u32_e64 s34, v0
	s_cbranch_execz .LBB27_35
; %bb.34:                               ;   in Loop: Header=BB27_33 Depth=3
	ds_load_b64 v[22:23], v18
	v_sub_f32_e32 v24, 0, v15
	s_wait_dscnt 0x0
	v_pk_mul_f32 v[26:27], v[14:15], v[22:23] op_sel:[0,1] op_sel_hi:[0,0]
	s_delay_alu instid0(VALU_DEP_1) | instskip(SKIP_1) | instid1(VALU_DEP_2)
	v_pk_fma_f32 v[28:29], v[24:25], v[22:23], v[26:27] op_sel_hi:[0,1,1] neg_lo:[0,0,1] neg_hi:[0,0,1]
	v_pk_fma_f32 v[22:23], v[24:25], v[22:23], v[26:27]
	v_mov_b32_e32 v23, v29
	ds_store_b64 v16, v[22:23]
.LBB27_35:                              ;   in Loop: Header=BB27_33 Depth=3
	s_or_b32 exec_lo, exec_lo, s35
	s_delay_alu instid0(SALU_CYCLE_1)
	s_mov_b32 s35, exec_lo
	s_wait_dscnt 0x0
	s_barrier_signal -1
	s_barrier_wait -1
	v_cmpx_lt_u32_e64 s34, v0
	s_cbranch_execz .LBB27_32
; %bb.36:                               ;   in Loop: Header=BB27_33 Depth=3
	v_mov_b32_e32 v21, s33
	ds_load_b64 v[22:23], v17
	ds_load_b64 v[24:25], v21
	s_wait_dscnt 0x0
	v_dual_mul_f32 v21, v25, v23 :: v_dual_mul_f32 v23, v24, v23
	s_delay_alu instid0(VALU_DEP_1) | instskip(NEXT) | instid1(VALU_DEP_1)
	v_dual_fmac_f32 v23, v25, v22 :: v_dual_fma_f32 v21, v24, v22, -v21
	v_dual_add_f32 v14, v14, v23 :: v_dual_add_f32 v15, v15, v21
	s_branch .LBB27_32
.LBB27_37:                              ;   in Loop: Header=BB27_4 Depth=1
	s_and_saveexec_b32 s1, s0
	s_cbranch_execz .LBB27_2
; %bb.38:                               ;   in Loop: Header=BB27_4 Depth=1
	s_and_not1_b32 vcc_lo, exec_lo, s27
	s_mov_b32 s31, -1
	s_cbranch_vccnz .LBB27_42
; %bb.39:                               ;   in Loop: Header=BB27_4 Depth=1
	v_add_nc_u64_e32 v[14:15], v[12:13], v[8:9]
	v_mov_b32_e32 v5, v1
	s_mov_b32 s31, 0
	s_mov_b32 s33, s14
.LBB27_40:                              ;   Parent Loop BB27_4 Depth=1
                                        ; =>  This Inner Loop Header: Depth=2
	ds_load_b64 v[16:17], v5
	s_add_co_i32 s33, s33, -1
	v_add_nc_u32_e32 v5, s29, v5
	v_cmp_le_u32_e32 vcc_lo, s33, v0
	s_or_b32 s31, vcc_lo, s31
	s_wait_dscnt 0x0
	flat_store_b64 v[14:15], v[16:17]
	s_wait_xcnt 0x0
	v_add_nc_u64_e32 v[14:15], s[24:25], v[14:15]
	s_and_not1_b32 exec_lo, exec_lo, s31
	s_cbranch_execnz .LBB27_40
; %bb.41:                               ;   in Loop: Header=BB27_4 Depth=1
	s_or_b32 exec_lo, exec_lo, s31
	s_mov_b32 s31, 0
.LBB27_42:                              ;   in Loop: Header=BB27_4 Depth=1
	s_delay_alu instid0(SALU_CYCLE_1)
	s_and_b32 vcc_lo, exec_lo, s31
	s_cbranch_vccz .LBB27_2
; %bb.43:                               ;   in Loop: Header=BB27_4 Depth=1
	v_add_nc_u64_e32 v[12:13], s[16:17], v[12:13]
	v_dual_mov_b32 v5, v4 :: v_dual_mov_b32 v14, v19
	s_mov_b32 s31, 0
	s_delay_alu instid0(VALU_DEP_2) | instskip(NEXT) | instid1(VALU_DEP_1)
	v_add_nc_u64_e32 v[12:13], s[18:19], v[12:13]
	v_add_nc_u64_e32 v[12:13], v[12:13], v[2:3]
.LBB27_44:                              ;   Parent Loop BB27_4 Depth=1
                                        ; =>  This Inner Loop Header: Depth=2
	ds_load_b64 v[16:17], v5
	v_dual_add_nc_u32 v14, -1, v14 :: v_dual_add_nc_u32 v5, s29, v5
	s_delay_alu instid0(VALU_DEP_1)
	v_cmp_eq_u32_e32 vcc_lo, 0, v14
	s_or_b32 s31, vcc_lo, s31
	s_wait_dscnt 0x0
	flat_store_b64 v[12:13], v[16:17]
	s_wait_xcnt 0x0
	v_add_nc_u64_e32 v[12:13], s[22:23], v[12:13]
	s_and_not1_b32 exec_lo, exec_lo, s31
	s_cbranch_execnz .LBB27_44
	s_branch .LBB27_2
.LBB27_45:
	s_endpgm
	.section	.rodata,"a",@progbits
	.p2align	6, 0x0
	.amdhsa_kernel _ZL30rocblas_trtri_remainder_kernelILi16E19rocblas_complex_numIfEPKPKS1_PKPS1_Ev13rocblas_fill_17rocblas_diagonal_iT1_lillT2_lilli
		.amdhsa_group_segment_fixed_size 8192
		.amdhsa_private_segment_fixed_size 0
		.amdhsa_kernarg_size 100
		.amdhsa_user_sgpr_count 2
		.amdhsa_user_sgpr_dispatch_ptr 0
		.amdhsa_user_sgpr_queue_ptr 0
		.amdhsa_user_sgpr_kernarg_segment_ptr 1
		.amdhsa_user_sgpr_dispatch_id 0
		.amdhsa_user_sgpr_kernarg_preload_length 0
		.amdhsa_user_sgpr_kernarg_preload_offset 0
		.amdhsa_user_sgpr_private_segment_size 0
		.amdhsa_wavefront_size32 1
		.amdhsa_uses_dynamic_stack 0
		.amdhsa_enable_private_segment 0
		.amdhsa_system_sgpr_workgroup_id_x 1
		.amdhsa_system_sgpr_workgroup_id_y 0
		.amdhsa_system_sgpr_workgroup_id_z 1
		.amdhsa_system_sgpr_workgroup_info 0
		.amdhsa_system_vgpr_workitem_id 0
		.amdhsa_next_free_vgpr 30
		.amdhsa_next_free_sgpr 37
		.amdhsa_named_barrier_count 0
		.amdhsa_reserve_vcc 1
		.amdhsa_float_round_mode_32 0
		.amdhsa_float_round_mode_16_64 0
		.amdhsa_float_denorm_mode_32 3
		.amdhsa_float_denorm_mode_16_64 3
		.amdhsa_fp16_overflow 0
		.amdhsa_memory_ordered 1
		.amdhsa_forward_progress 1
		.amdhsa_inst_pref_size 15
		.amdhsa_round_robin_scheduling 0
		.amdhsa_exception_fp_ieee_invalid_op 0
		.amdhsa_exception_fp_denorm_src 0
		.amdhsa_exception_fp_ieee_div_zero 0
		.amdhsa_exception_fp_ieee_overflow 0
		.amdhsa_exception_fp_ieee_underflow 0
		.amdhsa_exception_fp_ieee_inexact 0
		.amdhsa_exception_int_div_zero 0
	.end_amdhsa_kernel
	.section	.text._ZL30rocblas_trtri_remainder_kernelILi16E19rocblas_complex_numIfEPKPKS1_PKPS1_Ev13rocblas_fill_17rocblas_diagonal_iT1_lillT2_lilli,"axG",@progbits,_ZL30rocblas_trtri_remainder_kernelILi16E19rocblas_complex_numIfEPKPKS1_PKPS1_Ev13rocblas_fill_17rocblas_diagonal_iT1_lillT2_lilli,comdat
.Lfunc_end27:
	.size	_ZL30rocblas_trtri_remainder_kernelILi16E19rocblas_complex_numIfEPKPKS1_PKPS1_Ev13rocblas_fill_17rocblas_diagonal_iT1_lillT2_lilli, .Lfunc_end27-_ZL30rocblas_trtri_remainder_kernelILi16E19rocblas_complex_numIfEPKPKS1_PKPS1_Ev13rocblas_fill_17rocblas_diagonal_iT1_lillT2_lilli
                                        ; -- End function
	.set _ZL30rocblas_trtri_remainder_kernelILi16E19rocblas_complex_numIfEPKPKS1_PKPS1_Ev13rocblas_fill_17rocblas_diagonal_iT1_lillT2_lilli.num_vgpr, 30
	.set _ZL30rocblas_trtri_remainder_kernelILi16E19rocblas_complex_numIfEPKPKS1_PKPS1_Ev13rocblas_fill_17rocblas_diagonal_iT1_lillT2_lilli.num_agpr, 0
	.set _ZL30rocblas_trtri_remainder_kernelILi16E19rocblas_complex_numIfEPKPKS1_PKPS1_Ev13rocblas_fill_17rocblas_diagonal_iT1_lillT2_lilli.numbered_sgpr, 37
	.set _ZL30rocblas_trtri_remainder_kernelILi16E19rocblas_complex_numIfEPKPKS1_PKPS1_Ev13rocblas_fill_17rocblas_diagonal_iT1_lillT2_lilli.num_named_barrier, 0
	.set _ZL30rocblas_trtri_remainder_kernelILi16E19rocblas_complex_numIfEPKPKS1_PKPS1_Ev13rocblas_fill_17rocblas_diagonal_iT1_lillT2_lilli.private_seg_size, 0
	.set _ZL30rocblas_trtri_remainder_kernelILi16E19rocblas_complex_numIfEPKPKS1_PKPS1_Ev13rocblas_fill_17rocblas_diagonal_iT1_lillT2_lilli.uses_vcc, 1
	.set _ZL30rocblas_trtri_remainder_kernelILi16E19rocblas_complex_numIfEPKPKS1_PKPS1_Ev13rocblas_fill_17rocblas_diagonal_iT1_lillT2_lilli.uses_flat_scratch, 0
	.set _ZL30rocblas_trtri_remainder_kernelILi16E19rocblas_complex_numIfEPKPKS1_PKPS1_Ev13rocblas_fill_17rocblas_diagonal_iT1_lillT2_lilli.has_dyn_sized_stack, 0
	.set _ZL30rocblas_trtri_remainder_kernelILi16E19rocblas_complex_numIfEPKPKS1_PKPS1_Ev13rocblas_fill_17rocblas_diagonal_iT1_lillT2_lilli.has_recursion, 0
	.set _ZL30rocblas_trtri_remainder_kernelILi16E19rocblas_complex_numIfEPKPKS1_PKPS1_Ev13rocblas_fill_17rocblas_diagonal_iT1_lillT2_lilli.has_indirect_call, 0
	.section	.AMDGPU.csdata,"",@progbits
; Kernel info:
; codeLenInByte = 1888
; TotalNumSgprs: 39
; NumVgprs: 30
; ScratchSize: 0
; MemoryBound: 0
; FloatMode: 240
; IeeeMode: 1
; LDSByteSize: 8192 bytes/workgroup (compile time only)
; SGPRBlocks: 0
; VGPRBlocks: 1
; NumSGPRsForWavesPerEU: 39
; NumVGPRsForWavesPerEU: 30
; NamedBarCnt: 0
; Occupancy: 16
; WaveLimiterHint : 0
; COMPUTE_PGM_RSRC2:SCRATCH_EN: 0
; COMPUTE_PGM_RSRC2:USER_SGPR: 2
; COMPUTE_PGM_RSRC2:TRAP_HANDLER: 0
; COMPUTE_PGM_RSRC2:TGID_X_EN: 1
; COMPUTE_PGM_RSRC2:TGID_Y_EN: 0
; COMPUTE_PGM_RSRC2:TGID_Z_EN: 1
; COMPUTE_PGM_RSRC2:TIDIG_COMP_CNT: 0
	.section	.text._ZL18rocblas_trtri_fillILi128E19rocblas_complex_numIdEPKPS1_EvP15_rocblas_handle13rocblas_fill_ililT1_llii,"axG",@progbits,_ZL18rocblas_trtri_fillILi128E19rocblas_complex_numIdEPKPS1_EvP15_rocblas_handle13rocblas_fill_ililT1_llii,comdat
	.globl	_ZL18rocblas_trtri_fillILi128E19rocblas_complex_numIdEPKPS1_EvP15_rocblas_handle13rocblas_fill_ililT1_llii ; -- Begin function _ZL18rocblas_trtri_fillILi128E19rocblas_complex_numIdEPKPS1_EvP15_rocblas_handle13rocblas_fill_ililT1_llii
	.p2align	8
	.type	_ZL18rocblas_trtri_fillILi128E19rocblas_complex_numIdEPKPS1_EvP15_rocblas_handle13rocblas_fill_ililT1_llii,@function
_ZL18rocblas_trtri_fillILi128E19rocblas_complex_numIdEPKPS1_EvP15_rocblas_handle13rocblas_fill_ililT1_llii: ; @_ZL18rocblas_trtri_fillILi128E19rocblas_complex_numIdEPKPS1_EvP15_rocblas_handle13rocblas_fill_ililT1_llii
; %bb.0:
	s_load_b64 s[2:3], s[0:1], 0x40
	s_bfe_u32 s4, ttmp6, 0x40014
	s_lshr_b32 s5, ttmp7, 16
	s_add_co_i32 s4, s4, 1
	s_bfe_u32 s6, ttmp6, 0x40008
	s_mul_i32 s4, s5, s4
	s_getreg_b32 s12, hwreg(HW_REG_IB_STS2, 6, 4)
	s_add_co_i32 s6, s6, s4
	s_cmp_eq_u32 s12, 0
	s_mov_b32 s13, 0
	s_cselect_b32 s33, s5, s6
	s_wait_kmcnt 0x0
	s_cmp_ge_u32 s33, s3
	s_cbranch_scc1 .LBB28_19
; %bb.1:
	s_clause 0x3
	s_load_b32 s14, s[0:1], 0x18
	s_load_b128 s[4:7], s[0:1], 0x8
	s_load_b128 s[8:11], s[0:1], 0x20
	s_load_b64 s[30:31], s[0:1], 0x30
	s_ashr_i32 s17, s2, 31
	s_mov_b32 s16, s2
	s_bfe_u32 s2, ttmp6, 0x4000c
	s_and_b32 s18, ttmp6, 15
	s_add_co_i32 s2, s2, 1
	s_add_nc_u64 s[24:25], s[0:1], 0x48
	s_mul_i32 s2, ttmp9, s2
	v_mov_b64_e32 v[6:7], 0
	s_add_co_i32 s18, s18, s2
	s_mov_b64 s[26:27], 0xffffffff
	s_wait_kmcnt 0x0
	s_ashr_i32 s15, s14, 31
	v_cvt_f32_u32_e32 v1, s6
	s_cmp_eq_u32 s12, 0
	s_cvt_f32_u32 s2, s6
	s_cvt_f32_u32 s19, s7
	s_cselect_b32 s12, ttmp9, s18
	v_rcp_iflag_f32_e32 v1, v1
	s_add_co_i32 s18, s5, -2
	s_fmamk_f32 s2, s19, 0x4f800000, s2
	v_cvt_f64_i32_e32 v[2:3], s18
	s_lshl_b64 s[18:19], s[12:13], 7
	s_sub_co_i32 s12, 0, s6
	v_s_rcp_f32 s2, s2
	v_mul_f32_e32 v1, 0x4f7ffffe, v1
	v_or_b32_e32 v0, s18, v0
	s_mov_b32 s18, s5
	s_add_co_i32 s20, s5, -1
	s_mul_u64 s[16:17], s[6:7], s[16:17]
	v_cvt_u32_f32_e32 v5, v1
	v_mov_b32_e32 v1, s19
	s_ashr_i32 s19, s5, 31
	s_mul_f32 s5, s2, 0x5f7ffffc
	s_ashr_i32 s21, s20, 31
	v_mul_lo_u32 v4, s12, v5
	v_cmp_gt_u64_e64 s2, s[16:17], v[0:1]
	s_mul_f32 s12, s5, 0x2f800000
	s_mul_u64 s[22:23], s[20:21], s[18:19]
	s_lshl_b64 s[30:31], s[30:31], 4
	s_lshl_b64 s[20:21], s[22:23], 2
	s_trunc_f32 s12, s12
	s_add_nc_u64 s[20:21], s[20:21], -7
	s_lshr_b64 s[22:23], s[22:23], 1
	s_sub_nc_u64 s[34:35], 0, s[6:7]
	s_fmamk_f32 s0, s12, 0xcf800000, s5
	v_mul_hi_u32 v8, v5, v4
	v_mov_b32_e32 v4, 0
	s_cvt_u32_f32 s29, s12
	s_cvt_u32_f32 s28, s0
	s_delay_alu instid0(VALU_DEP_2)
	v_add_nc_u32_e32 v16, v5, v8
	s_branch .LBB28_3
.LBB28_2:                               ;   in Loop: Header=BB28_3 Depth=1
	s_or_b32 exec_lo, exec_lo, s1
	s_add_co_i32 s33, s33, 0x10000
	s_delay_alu instid0(SALU_CYCLE_1)
	s_cmp_lt_u32 s33, s3
	s_cbranch_scc0 .LBB28_19
.LBB28_3:                               ; =>This Loop Header: Depth=1
                                        ;     Child Loop BB28_6 Depth 2
	s_and_saveexec_b32 s1, s2
	s_cbranch_execz .LBB28_2
; %bb.4:                                ;   in Loop: Header=BB28_3 Depth=1
	s_load_b32 s0, s[24:25], 0xc
	s_load_b64 s[36:37], s[10:11], s33 offset:0x0 scale_offset
	s_load_b32 s12, s[24:25], 0x0
	v_mov_b64_e32 v[8:9], v[0:1]
	s_mov_b32 s39, s13
	s_mov_b32 s5, 0
	s_wait_kmcnt 0x0
	s_and_b32 s38, s0, 0xffff
	s_add_nc_u64 s[36:37], s[36:37], s[30:31]
	s_mul_u64 s[38:39], s[38:39], s[12:13]
	s_branch .LBB28_6
.LBB28_5:                               ;   in Loop: Header=BB28_6 Depth=2
	v_add_nc_u64_e32 v[8:9], s[38:39], v[8:9]
	s_delay_alu instid0(VALU_DEP_1)
	v_cmp_le_u64_e32 vcc_lo, s[16:17], v[8:9]
	s_or_b32 s5, vcc_lo, s5
	s_wait_xcnt 0x0
	s_and_not1_b32 exec_lo, exec_lo, s5
	s_cbranch_execz .LBB28_2
.LBB28_6:                               ;   Parent Loop BB28_3 Depth=1
                                        ; =>  This Inner Loop Header: Depth=2
	v_or_b32_e32 v5, s7, v9
                                        ; implicit-def: $vgpr10_vgpr11
	s_mov_b32 s0, exec_lo
	s_delay_alu instid0(VALU_DEP_1)
	v_cmpx_ne_u64_e32 0, v[4:5]
	s_xor_b32 s40, exec_lo, s0
	s_cbranch_execz .LBB28_8
; %bb.7:                                ;   in Loop: Header=BB28_6 Depth=2
	s_mul_u64 s[42:43], s[34:35], s[28:29]
	v_dual_mov_b32 v10, v8 :: v_dual_mov_b32 v11, v4
	s_mul_hi_u32 s45, s28, s43
	s_mul_i32 s44, s28, s43
	s_mul_hi_u32 s12, s28, s42
	s_mul_hi_u32 s0, s29, s42
	s_add_nc_u64 s[44:45], s[12:13], s[44:45]
	s_mul_i32 s12, s29, s42
	s_mul_hi_u32 s41, s29, s43
	s_add_co_u32 s12, s44, s12
	s_add_co_ci_u32 s12, s45, s0
	s_add_co_ci_u32 s45, s41, 0
	s_mul_i32 s44, s29, s43
	v_dual_mov_b32 v12, v9 :: v_dual_mov_b32 v13, v4
	s_add_nc_u64 s[42:43], s[12:13], s[44:45]
	v_mov_b32_e32 v19, v4
	s_add_co_u32 s42, s28, s42
	s_cselect_b32 s0, -1, 0
	s_delay_alu instid0(SALU_CYCLE_1) | instskip(SKIP_1) | instid1(SALU_CYCLE_1)
	s_cmp_lg_u32 s0, 0
	s_add_co_ci_u32 s43, s29, s43
	s_mul_u64 s[44:45], s[34:35], s[42:43]
	s_delay_alu instid0(SALU_CYCLE_1)
	s_mul_hi_u32 s47, s42, s45
	s_mul_i32 s46, s42, s45
	s_mul_hi_u32 s12, s42, s44
	s_mul_i32 s41, s43, s44
	s_add_nc_u64 s[46:47], s[12:13], s[46:47]
	s_mul_hi_u32 s0, s43, s44
	s_mul_hi_u32 s48, s43, s45
	s_add_co_u32 s12, s46, s41
	s_add_co_ci_u32 s12, s47, s0
	s_mul_i32 s44, s43, s45
	s_add_co_ci_u32 s45, s48, 0
	s_delay_alu instid0(SALU_CYCLE_1) | instskip(NEXT) | instid1(SALU_CYCLE_1)
	s_add_nc_u64 s[44:45], s[12:13], s[44:45]
	s_add_co_u32 s0, s42, s44
	s_cselect_b32 s12, -1, 0
	v_mul_hi_u32 v18, v8, s0
	s_cmp_lg_u32 s12, 0
	s_add_co_ci_u32 s12, s43, s45
	s_and_b64 s[42:43], s[0:1], s[26:27]
	v_mul_u64_e32 v[10:11], s[12:13], v[10:11]
	v_mul_u64_e32 v[14:15], s[42:43], v[12:13]
	v_mul_u64_e32 v[12:13], s[12:13], v[12:13]
	s_delay_alu instid0(VALU_DEP_3) | instskip(NEXT) | instid1(VALU_DEP_1)
	v_add_nc_u64_e32 v[10:11], v[18:19], v[10:11]
	v_add_co_u32 v5, vcc_lo, v10, v14
	s_delay_alu instid0(VALU_DEP_2) | instskip(NEXT) | instid1(VALU_DEP_4)
	v_add_co_ci_u32_e32 v18, vcc_lo, v11, v15, vcc_lo
	v_add_co_ci_u32_e32 v13, vcc_lo, 0, v13, vcc_lo
	s_delay_alu instid0(VALU_DEP_1) | instskip(NEXT) | instid1(VALU_DEP_1)
	v_add_nc_u64_e32 v[10:11], v[18:19], v[12:13]
	v_mul_u64_e32 v[12:13], s[6:7], v[10:11]
	v_add_nc_u64_e32 v[14:15], 2, v[10:11]
	s_delay_alu instid0(VALU_DEP_2) | instskip(NEXT) | instid1(VALU_DEP_3)
	v_sub_nc_u32_e32 v5, v9, v13
	v_sub_co_u32 v12, vcc_lo, v8, v12
	s_delay_alu instid0(VALU_DEP_1) | instskip(NEXT) | instid1(VALU_DEP_3)
	v_sub_co_ci_u32_e64 v19, null, v9, v13, vcc_lo
	v_subrev_co_ci_u32_e64 v5, null, s7, v5, vcc_lo
	s_delay_alu instid0(VALU_DEP_3) | instskip(SKIP_1) | instid1(VALU_DEP_3)
	v_sub_co_u32 v17, s0, v12, s6
	v_cmp_le_u32_e32 vcc_lo, s6, v12
	v_subrev_co_ci_u32_e64 v5, null, 0, v5, s0
	s_delay_alu instid0(VALU_DEP_3) | instskip(SKIP_2) | instid1(VALU_DEP_4)
	v_cmp_le_u32_e64 s0, s6, v17
	v_add_nc_u64_e32 v[12:13], 1, v[10:11]
	v_cndmask_b32_e64 v20, 0, -1, vcc_lo
	v_cmp_eq_u32_e32 vcc_lo, s7, v5
	s_delay_alu instid0(VALU_DEP_4) | instskip(SKIP_1) | instid1(VALU_DEP_1)
	v_cndmask_b32_e64 v17, 0, -1, s0
	v_cmp_le_u32_e64 s0, s7, v5
	v_cndmask_b32_e64 v18, 0, -1, s0
	v_cmp_eq_u32_e64 s0, s7, v19
	s_delay_alu instid0(VALU_DEP_2) | instskip(SKIP_2) | instid1(VALU_DEP_3)
	v_cndmask_b32_e32 v5, v18, v17, vcc_lo
	v_cmp_le_u32_e32 vcc_lo, s7, v19
	v_cndmask_b32_e64 v17, 0, -1, vcc_lo
	v_cmp_ne_u32_e32 vcc_lo, 0, v5
	s_delay_alu instid0(VALU_DEP_2) | instskip(SKIP_1) | instid1(VALU_DEP_2)
	v_dual_cndmask_b32 v5, v17, v20, s0 :: v_dual_cndmask_b32 v12, v12, v14, vcc_lo
	v_cndmask_b32_e32 v13, v13, v15, vcc_lo
	v_cmp_ne_u32_e32 vcc_lo, 0, v5
	s_delay_alu instid0(VALU_DEP_2)
	v_dual_cndmask_b32 v11, v11, v13 :: v_dual_cndmask_b32 v10, v10, v12
.LBB28_8:                               ;   in Loop: Header=BB28_6 Depth=2
	s_and_not1_saveexec_b32 s0, s40
	s_cbranch_execz .LBB28_10
; %bb.9:                                ;   in Loop: Header=BB28_6 Depth=2
	v_mul_hi_u32 v5, v8, v16
	s_delay_alu instid0(VALU_DEP_1) | instskip(NEXT) | instid1(VALU_DEP_1)
	v_mul_lo_u32 v10, v5, s6
	v_dual_add_nc_u32 v11, 1, v5 :: v_dual_sub_nc_u32 v10, v8, v10
	s_delay_alu instid0(VALU_DEP_1) | instskip(SKIP_1) | instid1(VALU_DEP_2)
	v_subrev_nc_u32_e32 v12, s6, v10
	v_cmp_le_u32_e32 vcc_lo, s6, v10
	v_dual_cndmask_b32 v10, v10, v12 :: v_dual_cndmask_b32 v5, v5, v11
	s_delay_alu instid0(VALU_DEP_1) | instskip(NEXT) | instid1(VALU_DEP_2)
	v_cmp_le_u32_e32 vcc_lo, s6, v10
	v_add_nc_u32_e32 v11, 1, v5
	s_delay_alu instid0(VALU_DEP_1)
	v_dual_cndmask_b32 v10, v5, v11 :: v_dual_mov_b32 v11, v4
.LBB28_10:                              ;   in Loop: Header=BB28_6 Depth=2
	s_or_b32 exec_lo, exec_lo, s0
	s_delay_alu instid0(VALU_DEP_1) | instskip(SKIP_1) | instid1(VALU_DEP_1)
	v_mul_u64_e32 v[12:13], s[6:7], v[10:11]
	s_cmp_lt_i32 s4, 0x7a
	v_sub_nc_u64_e32 v[12:13], v[8:9], v[12:13]
	s_cbranch_scc1 .LBB28_13
; %bb.11:                               ;   in Loop: Header=BB28_6 Depth=2
	s_mov_b32 s0, 0
	s_cmp_eq_u32 s4, 0x7a
	s_mov_b32 s12, 0
                                        ; implicit-def: $vgpr14_vgpr15
	s_cbranch_scc0 .LBB28_14
; %bb.12:                               ;   in Loop: Header=BB28_6 Depth=2
	s_delay_alu instid0(VALU_DEP_1) | instskip(SKIP_1) | instid1(VALU_DEP_1)
	v_lshlrev_b64_e32 v[14:15], 3, v[12:13]
	s_mov_b32 s12, -1
	v_sub_nc_u64_e32 v[14:15], s[20:21], v[14:15]
	s_delay_alu instid0(VALU_DEP_1) | instskip(NEXT) | instid1(VALU_DEP_2)
	v_cvt_f64_u32_e32 v[18:19], v15
	v_cvt_f64_u32_e32 v[14:15], v14
	s_delay_alu instid0(VALU_DEP_2) | instskip(NEXT) | instid1(VALU_DEP_1)
	v_ldexp_f64 v[18:19], v[18:19], 32
	v_add_f64_e32 v[14:15], v[18:19], v[14:15]
	s_delay_alu instid0(VALU_DEP_1) | instskip(SKIP_1) | instid1(VALU_DEP_1)
	v_cmp_gt_f64_e32 vcc_lo, 0x10000000, v[14:15]
	v_cndmask_b32_e64 v5, 0, 0x100, vcc_lo
	v_ldexp_f64 v[14:15], v[14:15], v5
	v_cndmask_b32_e64 v5, 0, 0xffffff80, vcc_lo
	s_delay_alu instid0(VALU_DEP_2) | instskip(SKIP_1) | instid1(TRANS32_DEP_1)
	v_rsq_f64_e32 v[18:19], v[14:15]
	v_cmp_class_f64_e64 vcc_lo, v[14:15], 0x260
	v_mul_f64_e32 v[20:21], v[14:15], v[18:19]
	v_mul_f64_e32 v[18:19], 0.5, v[18:19]
	s_delay_alu instid0(VALU_DEP_1) | instskip(NEXT) | instid1(VALU_DEP_1)
	v_fma_f64 v[22:23], -v[18:19], v[20:21], 0.5
	v_fmac_f64_e32 v[20:21], v[20:21], v[22:23]
	v_fmac_f64_e32 v[18:19], v[18:19], v[22:23]
	s_delay_alu instid0(VALU_DEP_2) | instskip(NEXT) | instid1(VALU_DEP_1)
	v_fma_f64 v[22:23], -v[20:21], v[20:21], v[14:15]
	v_fmac_f64_e32 v[20:21], v[22:23], v[18:19]
	s_delay_alu instid0(VALU_DEP_1) | instskip(NEXT) | instid1(VALU_DEP_1)
	v_fma_f64 v[22:23], -v[20:21], v[20:21], v[14:15]
	v_fmac_f64_e32 v[20:21], v[22:23], v[18:19]
	s_delay_alu instid0(VALU_DEP_1) | instskip(SKIP_1) | instid1(VALU_DEP_2)
	v_ldexp_f64 v[18:19], v[20:21], v5
	v_mul_u64_e32 v[20:21], s[8:9], v[10:11]
	v_dual_cndmask_b32 v15, v19, v15 :: v_dual_cndmask_b32 v14, v18, v14
	s_delay_alu instid0(VALU_DEP_2) | instskip(NEXT) | instid1(VALU_DEP_2)
	v_lshl_add_u64 v[20:21], v[20:21], 4, s[36:37]
	v_fma_f64 v[14:15], v[14:15], 0.5, -0.5
	s_delay_alu instid0(VALU_DEP_1) | instskip(NEXT) | instid1(VALU_DEP_1)
	v_floor_f64_e32 v[14:15], v[14:15]
	v_add_f64_e64 v[14:15], v[2:3], -v[14:15]
	s_delay_alu instid0(VALU_DEP_1) | instskip(NEXT) | instid1(VALU_DEP_1)
	v_trunc_f64_e32 v[14:15], v[14:15]
	v_ldexp_f64 v[18:19], v[14:15], 0xffffffe0
	s_delay_alu instid0(VALU_DEP_1) | instskip(NEXT) | instid1(VALU_DEP_1)
	v_floor_f64_e32 v[18:19], v[18:19]
	v_fmac_f64_e32 v[14:15], 0xc1f00000, v[18:19]
	s_delay_alu instid0(VALU_DEP_1) | instskip(SKIP_1) | instid1(VALU_DEP_1)
	v_cvt_u32_f64_e32 v14, v[14:15]
	v_cvt_u32_f64_e32 v15, v[18:19]
	v_sub_nc_u64_e32 v[18:19], s[18:19], v[14:15]
	v_mul_u64_e32 v[24:25], s[14:15], v[14:15]
	s_delay_alu instid0(VALU_DEP_2) | instskip(NEXT) | instid1(VALU_DEP_1)
	v_add_nc_u64_e32 v[22:23], -1, v[18:19]
	v_mul_u64_e32 v[18:19], v[22:23], v[18:19]
	v_sub_nc_u64_e64 v[22:23], v[12:13], s[22:23]
	s_delay_alu instid0(VALU_DEP_4) | instskip(NEXT) | instid1(VALU_DEP_1)
	v_lshl_add_u64 v[20:21], v[24:25], 4, v[20:21]
	v_lshl_add_u64 v[20:21], v[22:23], 4, v[20:21]
	s_delay_alu instid0(VALU_DEP_1) | instskip(SKIP_1) | instid1(VALU_DEP_1)
	v_lshl_add_u64 v[14:15], v[14:15], 4, v[20:21]
	v_lshlrev_b64_e32 v[18:19], 3, v[18:19]
	v_and_b32_e32 v18, -16, v18
	s_delay_alu instid0(VALU_DEP_1) | instskip(NEXT) | instid1(VALU_DEP_1)
	v_add_nc_u64_e32 v[18:19], v[14:15], v[18:19]
	v_add_nc_u64_e32 v[14:15], 16, v[18:19]
	flat_store_b64 v[18:19], v[6:7] offset:16
	s_branch .LBB28_14
.LBB28_13:                              ;   in Loop: Header=BB28_6 Depth=2
	s_mov_b32 s0, -1
	s_mov_b32 s12, 0
                                        ; implicit-def: $vgpr14_vgpr15
.LBB28_14:                              ;   in Loop: Header=BB28_6 Depth=2
	s_and_b32 vcc_lo, exec_lo, s0
	s_cbranch_vccz .LBB28_17
; %bb.15:                               ;   in Loop: Header=BB28_6 Depth=2
	s_cmp_eq_u32 s4, 0x79
                                        ; implicit-def: $vgpr14_vgpr15
	s_cbranch_scc0 .LBB28_17
; %bb.16:                               ;   in Loop: Header=BB28_6 Depth=2
	v_lshlrev_b64_e32 v[14:15], 3, v[12:13]
	v_mul_u64_e32 v[10:11], s[8:9], v[10:11]
	s_mov_b32 s12, -1
	s_wait_xcnt 0x0
	s_delay_alu instid0(VALU_DEP_2) | instskip(NEXT) | instid1(VALU_DEP_3)
	v_cvt_f64_u32_e32 v[18:19], v15
	v_or_b32_e32 v5, 1, v14
	s_delay_alu instid0(VALU_DEP_1) | instskip(NEXT) | instid1(VALU_DEP_4)
	v_cvt_f64_u32_e32 v[14:15], v5
	v_lshl_add_u64 v[10:11], v[10:11], 4, s[36:37]
	s_delay_alu instid0(VALU_DEP_4) | instskip(NEXT) | instid1(VALU_DEP_1)
	v_ldexp_f64 v[18:19], v[18:19], 32
	v_add_f64_e32 v[14:15], v[18:19], v[14:15]
	s_delay_alu instid0(VALU_DEP_1) | instskip(SKIP_1) | instid1(VALU_DEP_1)
	v_cmp_gt_f64_e32 vcc_lo, 0x10000000, v[14:15]
	v_cndmask_b32_e64 v5, 0, 0x100, vcc_lo
	v_ldexp_f64 v[14:15], v[14:15], v5
	v_cndmask_b32_e64 v5, 0, 0xffffff80, vcc_lo
	s_delay_alu instid0(VALU_DEP_2) | instskip(SKIP_1) | instid1(TRANS32_DEP_1)
	v_rsq_f64_e32 v[18:19], v[14:15]
	v_cmp_class_f64_e64 vcc_lo, v[14:15], 0x260
	v_mul_f64_e32 v[20:21], v[14:15], v[18:19]
	v_mul_f64_e32 v[18:19], 0.5, v[18:19]
	s_delay_alu instid0(VALU_DEP_1) | instskip(NEXT) | instid1(VALU_DEP_1)
	v_fma_f64 v[22:23], -v[18:19], v[20:21], 0.5
	v_fmac_f64_e32 v[20:21], v[20:21], v[22:23]
	v_fmac_f64_e32 v[18:19], v[18:19], v[22:23]
	s_delay_alu instid0(VALU_DEP_2) | instskip(NEXT) | instid1(VALU_DEP_1)
	v_fma_f64 v[22:23], -v[20:21], v[20:21], v[14:15]
	v_fmac_f64_e32 v[20:21], v[22:23], v[18:19]
	s_delay_alu instid0(VALU_DEP_1) | instskip(NEXT) | instid1(VALU_DEP_1)
	v_fma_f64 v[22:23], -v[20:21], v[20:21], v[14:15]
	v_fmac_f64_e32 v[20:21], v[22:23], v[18:19]
	s_delay_alu instid0(VALU_DEP_1) | instskip(NEXT) | instid1(VALU_DEP_1)
	v_ldexp_f64 v[18:19], v[20:21], v5
	v_dual_cndmask_b32 v15, v19, v15 :: v_dual_cndmask_b32 v14, v18, v14
	s_delay_alu instid0(VALU_DEP_1) | instskip(NEXT) | instid1(VALU_DEP_1)
	v_add_f64_e32 v[14:15], -1.0, v[14:15]
	v_mul_f64_e32 v[14:15], 0.5, v[14:15]
	s_delay_alu instid0(VALU_DEP_1) | instskip(NEXT) | instid1(VALU_DEP_1)
	v_trunc_f64_e32 v[14:15], v[14:15]
	v_ldexp_f64 v[18:19], v[14:15], 0xffffffe0
	s_delay_alu instid0(VALU_DEP_1) | instskip(NEXT) | instid1(VALU_DEP_1)
	v_floor_f64_e32 v[18:19], v[18:19]
	v_fmac_f64_e32 v[14:15], 0xc1f00000, v[18:19]
	s_delay_alu instid0(VALU_DEP_1) | instskip(SKIP_1) | instid1(VALU_DEP_2)
	v_cvt_u32_f64_e32 v14, v[14:15]
	v_cvt_u32_f64_e32 v15, v[18:19]
	v_mad_nc_u64_u32 v[18:19], s14, v14, s[14:15]
	s_delay_alu instid0(VALU_DEP_2) | instskip(SKIP_1) | instid1(VALU_DEP_3)
	v_mad_nc_u64_u32 v[20:21], v14, v14, v[14:15]
	v_mul_lo_u32 v5, v14, v15
	v_mad_u32 v14, s15, v14, v19
	s_delay_alu instid0(VALU_DEP_2) | instskip(NEXT) | instid1(VALU_DEP_2)
	v_add3_u32 v21, v5, v21, v5
	v_mad_u32 v19, s14, v15, v14
	s_delay_alu instid0(VALU_DEP_2) | instskip(NEXT) | instid1(VALU_DEP_1)
	v_lshrrev_b64 v[14:15], 1, v[20:21]
	v_sub_nc_u64_e32 v[12:13], v[12:13], v[14:15]
	s_delay_alu instid0(VALU_DEP_3) | instskip(NEXT) | instid1(VALU_DEP_1)
	v_lshl_add_u64 v[10:11], v[18:19], 4, v[10:11]
	v_lshl_add_u64 v[14:15], v[12:13], 4, v[10:11]
	flat_store_b64 v[14:15], v[6:7]
.LBB28_17:                              ;   in Loop: Header=BB28_6 Depth=2
	s_and_b32 vcc_lo, exec_lo, s12
	s_cbranch_vccz .LBB28_5
; %bb.18:                               ;   in Loop: Header=BB28_6 Depth=2
	flat_store_b64 v[14:15], v[6:7] offset:8
	s_branch .LBB28_5
.LBB28_19:
	s_endpgm
	.section	.rodata,"a",@progbits
	.p2align	6, 0x0
	.amdhsa_kernel _ZL18rocblas_trtri_fillILi128E19rocblas_complex_numIdEPKPS1_EvP15_rocblas_handle13rocblas_fill_ililT1_llii
		.amdhsa_group_segment_fixed_size 0
		.amdhsa_private_segment_fixed_size 0
		.amdhsa_kernarg_size 328
		.amdhsa_user_sgpr_count 2
		.amdhsa_user_sgpr_dispatch_ptr 0
		.amdhsa_user_sgpr_queue_ptr 0
		.amdhsa_user_sgpr_kernarg_segment_ptr 1
		.amdhsa_user_sgpr_dispatch_id 0
		.amdhsa_user_sgpr_kernarg_preload_length 0
		.amdhsa_user_sgpr_kernarg_preload_offset 0
		.amdhsa_user_sgpr_private_segment_size 0
		.amdhsa_wavefront_size32 1
		.amdhsa_uses_dynamic_stack 0
		.amdhsa_enable_private_segment 0
		.amdhsa_system_sgpr_workgroup_id_x 1
		.amdhsa_system_sgpr_workgroup_id_y 0
		.amdhsa_system_sgpr_workgroup_id_z 1
		.amdhsa_system_sgpr_workgroup_info 0
		.amdhsa_system_vgpr_workitem_id 0
		.amdhsa_next_free_vgpr 26
		.amdhsa_next_free_sgpr 49
		.amdhsa_named_barrier_count 0
		.amdhsa_reserve_vcc 1
		.amdhsa_float_round_mode_32 0
		.amdhsa_float_round_mode_16_64 0
		.amdhsa_float_denorm_mode_32 3
		.amdhsa_float_denorm_mode_16_64 3
		.amdhsa_fp16_overflow 0
		.amdhsa_memory_ordered 1
		.amdhsa_forward_progress 1
		.amdhsa_inst_pref_size 15
		.amdhsa_round_robin_scheduling 0
		.amdhsa_exception_fp_ieee_invalid_op 0
		.amdhsa_exception_fp_denorm_src 0
		.amdhsa_exception_fp_ieee_div_zero 0
		.amdhsa_exception_fp_ieee_overflow 0
		.amdhsa_exception_fp_ieee_underflow 0
		.amdhsa_exception_fp_ieee_inexact 0
		.amdhsa_exception_int_div_zero 0
	.end_amdhsa_kernel
	.section	.text._ZL18rocblas_trtri_fillILi128E19rocblas_complex_numIdEPKPS1_EvP15_rocblas_handle13rocblas_fill_ililT1_llii,"axG",@progbits,_ZL18rocblas_trtri_fillILi128E19rocblas_complex_numIdEPKPS1_EvP15_rocblas_handle13rocblas_fill_ililT1_llii,comdat
.Lfunc_end28:
	.size	_ZL18rocblas_trtri_fillILi128E19rocblas_complex_numIdEPKPS1_EvP15_rocblas_handle13rocblas_fill_ililT1_llii, .Lfunc_end28-_ZL18rocblas_trtri_fillILi128E19rocblas_complex_numIdEPKPS1_EvP15_rocblas_handle13rocblas_fill_ililT1_llii
                                        ; -- End function
	.set _ZL18rocblas_trtri_fillILi128E19rocblas_complex_numIdEPKPS1_EvP15_rocblas_handle13rocblas_fill_ililT1_llii.num_vgpr, 26
	.set _ZL18rocblas_trtri_fillILi128E19rocblas_complex_numIdEPKPS1_EvP15_rocblas_handle13rocblas_fill_ililT1_llii.num_agpr, 0
	.set _ZL18rocblas_trtri_fillILi128E19rocblas_complex_numIdEPKPS1_EvP15_rocblas_handle13rocblas_fill_ililT1_llii.numbered_sgpr, 49
	.set _ZL18rocblas_trtri_fillILi128E19rocblas_complex_numIdEPKPS1_EvP15_rocblas_handle13rocblas_fill_ililT1_llii.num_named_barrier, 0
	.set _ZL18rocblas_trtri_fillILi128E19rocblas_complex_numIdEPKPS1_EvP15_rocblas_handle13rocblas_fill_ililT1_llii.private_seg_size, 0
	.set _ZL18rocblas_trtri_fillILi128E19rocblas_complex_numIdEPKPS1_EvP15_rocblas_handle13rocblas_fill_ililT1_llii.uses_vcc, 1
	.set _ZL18rocblas_trtri_fillILi128E19rocblas_complex_numIdEPKPS1_EvP15_rocblas_handle13rocblas_fill_ililT1_llii.uses_flat_scratch, 0
	.set _ZL18rocblas_trtri_fillILi128E19rocblas_complex_numIdEPKPS1_EvP15_rocblas_handle13rocblas_fill_ililT1_llii.has_dyn_sized_stack, 0
	.set _ZL18rocblas_trtri_fillILi128E19rocblas_complex_numIdEPKPS1_EvP15_rocblas_handle13rocblas_fill_ililT1_llii.has_recursion, 0
	.set _ZL18rocblas_trtri_fillILi128E19rocblas_complex_numIdEPKPS1_EvP15_rocblas_handle13rocblas_fill_ililT1_llii.has_indirect_call, 0
	.section	.AMDGPU.csdata,"",@progbits
; Kernel info:
; codeLenInByte = 1852
; TotalNumSgprs: 51
; NumVgprs: 26
; ScratchSize: 0
; MemoryBound: 0
; FloatMode: 240
; IeeeMode: 1
; LDSByteSize: 0 bytes/workgroup (compile time only)
; SGPRBlocks: 0
; VGPRBlocks: 1
; NumSGPRsForWavesPerEU: 51
; NumVGPRsForWavesPerEU: 26
; NamedBarCnt: 0
; Occupancy: 16
; WaveLimiterHint : 1
; COMPUTE_PGM_RSRC2:SCRATCH_EN: 0
; COMPUTE_PGM_RSRC2:USER_SGPR: 2
; COMPUTE_PGM_RSRC2:TRAP_HANDLER: 0
; COMPUTE_PGM_RSRC2:TGID_X_EN: 1
; COMPUTE_PGM_RSRC2:TGID_Y_EN: 0
; COMPUTE_PGM_RSRC2:TGID_Z_EN: 1
; COMPUTE_PGM_RSRC2:TIDIG_COMP_CNT: 0
	.section	.text._ZL26rocblas_trtri_small_kernelILi16E19rocblas_complex_numIdEPKPKS1_PKPS1_Ev13rocblas_fill_17rocblas_diagonal_iT1_lillT2_lilli,"axG",@progbits,_ZL26rocblas_trtri_small_kernelILi16E19rocblas_complex_numIdEPKPKS1_PKPS1_Ev13rocblas_fill_17rocblas_diagonal_iT1_lillT2_lilli,comdat
	.globl	_ZL26rocblas_trtri_small_kernelILi16E19rocblas_complex_numIdEPKPKS1_PKPS1_Ev13rocblas_fill_17rocblas_diagonal_iT1_lillT2_lilli ; -- Begin function _ZL26rocblas_trtri_small_kernelILi16E19rocblas_complex_numIdEPKPKS1_PKPS1_Ev13rocblas_fill_17rocblas_diagonal_iT1_lillT2_lilli
	.p2align	8
	.type	_ZL26rocblas_trtri_small_kernelILi16E19rocblas_complex_numIdEPKPKS1_PKPS1_Ev13rocblas_fill_17rocblas_diagonal_iT1_lillT2_lilli,@function
_ZL26rocblas_trtri_small_kernelILi16E19rocblas_complex_numIdEPKPKS1_PKPS1_Ev13rocblas_fill_17rocblas_diagonal_iT1_lillT2_lilli: ; @_ZL26rocblas_trtri_small_kernelILi16E19rocblas_complex_numIdEPKPKS1_PKPS1_Ev13rocblas_fill_17rocblas_diagonal_iT1_lillT2_lilli
; %bb.0:
	s_load_b32 s15, s[0:1], 0x60
	s_bfe_u32 s2, ttmp6, 0x40014
	s_lshr_b32 s3, ttmp7, 16
	s_add_co_i32 s2, s2, 1
	s_bfe_u32 s4, ttmp6, 0x40008
	s_mul_i32 s2, s3, s2
	s_getreg_b32 s19, hwreg(HW_REG_IB_STS2, 6, 4)
	s_add_co_i32 s4, s4, s2
	s_cmp_eq_u32 s19, 0
	s_cselect_b32 s2, s3, s4
	s_mov_b32 s3, 0
	s_wait_kmcnt 0x0
	s_cmp_ge_u32 s2, s15
	s_cbranch_scc1 .LBB29_43
; %bb.1:
	s_clause 0x5
	s_load_b32 s20, s[0:1], 0x20
	s_load_b96 s[16:18], s[0:1], 0x40
	s_load_b96 s[12:14], s[0:1], 0x0
	s_load_b128 s[4:7], s[0:1], 0x30
	s_load_b128 s[8:11], s[0:1], 0x10
	s_load_b64 s[22:23], s[0:1], 0x58
	s_wait_xcnt 0x0
	s_bfe_u32 s1, ttmp6, 0x4000c
	s_and_b32 s0, ttmp6, 15
	s_add_co_i32 s1, s1, 1
	s_mov_b32 s25, s3
	s_mul_i32 s1, ttmp9, s1
	s_mov_b32 s31, s3
	s_add_co_i32 s1, s0, s1
	v_dual_lshlrev_b32 v10, 4, v0 :: v_dual_add_nc_u32 v21, 1, v0
	v_lshlrev_b32_e32 v12, 4, v0
	s_wait_kmcnt 0x0
	s_ashr_i32 s21, s20, 31
	s_ashr_i32 s35, s18, 31
	s_cmp_eq_u32 s19, 0
	s_mov_b32 s34, s18
	s_cselect_b32 s24, ttmp9, s1
	s_cmp_gt_i32 s14, 0
	s_mul_u64 s[4:5], s[4:5], s[24:25]
	s_cselect_b32 s26, -1, 0
	s_cmp_lg_u32 s12, 0x7a
	v_mul_lo_u32 v2, v0, s14
	s_cselect_b32 s27, -1, 0
	s_add_co_i32 s30, s14, -1
	s_delay_alu instid0(SALU_CYCLE_1)
	v_dual_mov_b32 v11, 0 :: v_dual_sub_nc_u32 v1, s30, v0
	s_cmp_lg_u32 s13, 0x84
	s_mul_u64 s[12:13], s[20:21], s[30:31]
	s_cselect_b32 s28, -1, 0
	s_lshl_b64 s[4:5], s[4:5], 4
	s_lshl_b64 s[12:13], s[12:13], 4
	v_dual_lshlrev_b32 v1, 4, v1 :: v_dual_mov_b32 v13, v11
	s_add_nc_u64 s[12:13], s[4:5], s[12:13]
	s_lshl_b64 s[10:11], s[10:11], 4
	s_mul_u64 s[18:19], s[22:23], s[24:25]
	s_add_nc_u64 s[12:13], s[12:13], s[10:11]
	s_lshl_b64 s[18:19], s[18:19], 4
	v_add_nc_u64_e32 v[14:15], s[12:13], v[12:13]
	s_lshl_b64 s[12:13], s[20:21], 4
	s_mul_u64 s[20:21], s[34:35], s[30:31]
	s_lshl_b64 s[16:17], s[16:17], 4
	s_lshl_b64 s[22:23], s[20:21], 4
	s_lshl_b32 s29, s14, 4
	s_add_nc_u64 s[22:23], s[18:19], s[22:23]
	v_cmp_gt_u32_e64 s0, s14, v0
	s_add_nc_u64 s[22:23], s[22:23], s[16:17]
	v_add_lshl_u32 v20, v2, v0, 4
	v_add_nc_u64_e32 v[16:17], s[22:23], v[12:13]
	v_add_nc_u32_e32 v22, s29, v12
	s_lshl_b64 s[22:23], s[34:35], 4
	s_sub_nc_u64 s[20:21], 0, s[12:13]
	s_add_co_i32 s30, s29, 16
	s_sub_nc_u64 s[24:25], 0, s[22:23]
	s_branch .LBB29_4
.LBB29_2:                               ;   in Loop: Header=BB29_4 Depth=1
	s_or_b32 exec_lo, exec_lo, s1
.LBB29_3:                               ;   in Loop: Header=BB29_4 Depth=1
	s_add_co_i32 s2, s2, 0x10000
	s_delay_alu instid0(SALU_CYCLE_1)
	s_cmp_lt_u32 s2, s15
	s_cbranch_scc0 .LBB29_43
.LBB29_4:                               ; =>This Loop Header: Depth=1
                                        ;     Child Loop BB29_8 Depth 2
                                        ;     Child Loop BB29_12 Depth 2
	;; [unrolled: 1-line block ×3, first 2 shown]
                                        ;       Child Loop BB29_31 Depth 3
                                        ;     Child Loop BB29_38 Depth 2
                                        ;     Child Loop BB29_42 Depth 2
	s_and_not1_b32 vcc_lo, exec_lo, s26
	s_cbranch_vccnz .LBB29_3
; %bb.5:                                ;   in Loop: Header=BB29_4 Depth=1
	v_mov_b32_e32 v2, s2
	global_load_b64 v[18:19], v2, s[6:7] scale_offset
	s_wait_xcnt 0x0
	s_and_saveexec_b32 s1, s0
	s_cbranch_execz .LBB29_13
; %bb.6:                                ;   in Loop: Header=BB29_4 Depth=1
	s_lshl_b64 s[34:35], s[2:3], 3
	s_and_not1_b32 vcc_lo, exec_lo, s27
	s_add_nc_u64 s[34:35], s[8:9], s[34:35]
	s_mov_b32 s31, -1
	global_load_b64 v[2:3], v11, s[34:35]
	s_cbranch_vccnz .LBB29_10
; %bb.7:                                ;   in Loop: Header=BB29_4 Depth=1
	s_wait_loadcnt 0x0
	v_add_nc_u64_e32 v[4:5], v[2:3], v[14:15]
	v_mov_b32_e32 v6, v1
	s_mov_b32 s31, 0
	s_mov_b32 s33, s14
.LBB29_8:                               ;   Parent Loop BB29_4 Depth=1
                                        ; =>  This Inner Loop Header: Depth=2
	flat_load_b128 v[24:27], v[4:5]
	s_add_co_i32 s33, s33, -1
	s_wait_xcnt 0x0
	v_add_nc_u64_e32 v[4:5], s[20:21], v[4:5]
	v_cmp_le_u32_e32 vcc_lo, s33, v0
	s_or_b32 s31, vcc_lo, s31
	s_wait_loadcnt_dscnt 0x0
	ds_store_2addr_b64 v6, v[24:25], v[26:27] offset1:1
	v_add_nc_u32_e32 v6, s29, v6
	s_and_not1_b32 exec_lo, exec_lo, s31
	s_cbranch_execnz .LBB29_8
; %bb.9:                                ;   in Loop: Header=BB29_4 Depth=1
	s_or_b32 exec_lo, exec_lo, s31
	s_mov_b32 s31, 0
.LBB29_10:                              ;   in Loop: Header=BB29_4 Depth=1
	s_delay_alu instid0(SALU_CYCLE_1)
	s_and_b32 vcc_lo, exec_lo, s31
	s_cbranch_vccz .LBB29_13
; %bb.11:                               ;   in Loop: Header=BB29_4 Depth=1
	s_wait_loadcnt 0x0
	v_add_nc_u64_e32 v[2:3], s[10:11], v[2:3]
	v_dual_mov_b32 v4, v12 :: v_dual_mov_b32 v5, v21
	s_mov_b32 s31, 0
	s_delay_alu instid0(VALU_DEP_2) | instskip(NEXT) | instid1(VALU_DEP_1)
	v_add_nc_u64_e32 v[2:3], s[4:5], v[2:3]
	v_add_nc_u64_e32 v[2:3], v[2:3], v[10:11]
.LBB29_12:                              ;   Parent Loop BB29_4 Depth=1
                                        ; =>  This Inner Loop Header: Depth=2
	flat_load_b128 v[6:9], v[2:3]
	v_add_nc_u32_e32 v5, -1, v5
	s_wait_xcnt 0x0
	v_add_nc_u64_e32 v[2:3], s[12:13], v[2:3]
	s_wait_loadcnt_dscnt 0x0
	ds_store_2addr_b64 v4, v[6:7], v[8:9] offset1:1
	v_add_nc_u32_e32 v4, s29, v4
	v_cmp_eq_u32_e32 vcc_lo, 0, v5
	s_or_b32 s31, vcc_lo, s31
	s_delay_alu instid0(SALU_CYCLE_1)
	s_and_not1_b32 exec_lo, exec_lo, s31
	s_cbranch_execnz .LBB29_12
.LBB29_13:                              ;   in Loop: Header=BB29_4 Depth=1
	s_wait_xcnt 0x0
	s_or_b32 exec_lo, exec_lo, s1
	; wave barrier
	s_wait_loadcnt_dscnt 0x0
	s_and_saveexec_b32 s31, s0
	s_cbranch_execz .LBB29_24
; %bb.14:                               ;   in Loop: Header=BB29_4 Depth=1
	s_and_not1_b32 vcc_lo, exec_lo, s28
	s_cbranch_vccnz .LBB29_22
; %bb.15:                               ;   in Loop: Header=BB29_4 Depth=1
	ds_load_b128 v[2:5], v20
	v_mov_b64_e32 v[8:9], 0
	v_mov_b64_e32 v[6:7], 1.0
	s_wait_dscnt 0x0
	v_cmp_neq_f64_e32 vcc_lo, 0, v[2:3]
	v_cmp_neq_f64_e64 s1, 0, v[4:5]
	s_or_b32 s33, vcc_lo, s1
	s_delay_alu instid0(SALU_CYCLE_1)
	s_and_saveexec_b32 s1, s33
	s_cbranch_execz .LBB29_21
; %bb.16:                               ;   in Loop: Header=BB29_4 Depth=1
	v_cmp_ngt_f64_e64 s33, |v[2:3]|, |v[4:5]|
                                        ; implicit-def: $vgpr8_vgpr9
	s_and_saveexec_b32 s34, s33
	s_delay_alu instid0(SALU_CYCLE_1)
	s_xor_b32 s33, exec_lo, s34
	s_cbranch_execz .LBB29_18
; %bb.17:                               ;   in Loop: Header=BB29_4 Depth=1
	v_div_scale_f64 v[6:7], null, v[4:5], v[4:5], v[2:3]
	v_div_scale_f64 v[26:27], vcc_lo, v[2:3], v[4:5], v[2:3]
	s_delay_alu instid0(VALU_DEP_2) | instskip(SKIP_1) | instid1(TRANS32_DEP_1)
	v_rcp_f64_e32 v[8:9], v[6:7]
	v_nop
	v_fma_f64 v[24:25], -v[6:7], v[8:9], 1.0
	s_delay_alu instid0(VALU_DEP_1) | instskip(NEXT) | instid1(VALU_DEP_1)
	v_fmac_f64_e32 v[8:9], v[8:9], v[24:25]
	v_fma_f64 v[24:25], -v[6:7], v[8:9], 1.0
	s_delay_alu instid0(VALU_DEP_1) | instskip(NEXT) | instid1(VALU_DEP_1)
	v_fmac_f64_e32 v[8:9], v[8:9], v[24:25]
	v_mul_f64_e32 v[24:25], v[26:27], v[8:9]
	s_delay_alu instid0(VALU_DEP_1) | instskip(NEXT) | instid1(VALU_DEP_1)
	v_fma_f64 v[6:7], -v[6:7], v[24:25], v[26:27]
	v_div_fmas_f64 v[6:7], v[6:7], v[8:9], v[24:25]
	s_delay_alu instid0(VALU_DEP_1) | instskip(NEXT) | instid1(VALU_DEP_1)
	v_div_fixup_f64 v[6:7], v[6:7], v[4:5], v[2:3]
	v_fmac_f64_e32 v[4:5], v[2:3], v[6:7]
	s_delay_alu instid0(VALU_DEP_1) | instskip(NEXT) | instid1(VALU_DEP_1)
	v_div_scale_f64 v[2:3], null, v[4:5], v[4:5], 1.0
	v_rcp_f64_e32 v[8:9], v[2:3]
	v_nop
	s_delay_alu instid0(TRANS32_DEP_1) | instskip(NEXT) | instid1(VALU_DEP_1)
	v_fma_f64 v[24:25], -v[2:3], v[8:9], 1.0
	v_fmac_f64_e32 v[8:9], v[8:9], v[24:25]
	s_delay_alu instid0(VALU_DEP_1) | instskip(NEXT) | instid1(VALU_DEP_1)
	v_fma_f64 v[24:25], -v[2:3], v[8:9], 1.0
	v_fmac_f64_e32 v[8:9], v[8:9], v[24:25]
	v_div_scale_f64 v[24:25], vcc_lo, 1.0, v[4:5], 1.0
	s_delay_alu instid0(VALU_DEP_1) | instskip(NEXT) | instid1(VALU_DEP_1)
	v_mul_f64_e32 v[26:27], v[24:25], v[8:9]
	v_fma_f64 v[2:3], -v[2:3], v[26:27], v[24:25]
	s_delay_alu instid0(VALU_DEP_1) | instskip(NEXT) | instid1(VALU_DEP_1)
	v_div_fmas_f64 v[2:3], v[2:3], v[8:9], v[26:27]
	v_div_fixup_f64 v[8:9], v[2:3], v[4:5], 1.0
                                        ; implicit-def: $vgpr2_vgpr3
	s_delay_alu instid0(VALU_DEP_1)
	v_mul_f64_e32 v[6:7], v[6:7], v[8:9]
	v_xor_b32_e32 v9, 0x80000000, v9
.LBB29_18:                              ;   in Loop: Header=BB29_4 Depth=1
	s_and_not1_saveexec_b32 s33, s33
	s_cbranch_execz .LBB29_20
; %bb.19:                               ;   in Loop: Header=BB29_4 Depth=1
	v_div_scale_f64 v[6:7], null, v[2:3], v[2:3], v[4:5]
	v_div_scale_f64 v[26:27], vcc_lo, v[4:5], v[2:3], v[4:5]
	s_delay_alu instid0(VALU_DEP_2) | instskip(SKIP_1) | instid1(TRANS32_DEP_1)
	v_rcp_f64_e32 v[8:9], v[6:7]
	v_nop
	v_fma_f64 v[24:25], -v[6:7], v[8:9], 1.0
	s_delay_alu instid0(VALU_DEP_1) | instskip(NEXT) | instid1(VALU_DEP_1)
	v_fmac_f64_e32 v[8:9], v[8:9], v[24:25]
	v_fma_f64 v[24:25], -v[6:7], v[8:9], 1.0
	s_delay_alu instid0(VALU_DEP_1) | instskip(NEXT) | instid1(VALU_DEP_1)
	v_fmac_f64_e32 v[8:9], v[8:9], v[24:25]
	v_mul_f64_e32 v[24:25], v[26:27], v[8:9]
	s_delay_alu instid0(VALU_DEP_1) | instskip(NEXT) | instid1(VALU_DEP_1)
	v_fma_f64 v[6:7], -v[6:7], v[24:25], v[26:27]
	v_div_fmas_f64 v[6:7], v[6:7], v[8:9], v[24:25]
	s_delay_alu instid0(VALU_DEP_1) | instskip(NEXT) | instid1(VALU_DEP_1)
	v_div_fixup_f64 v[8:9], v[6:7], v[2:3], v[4:5]
	v_fmac_f64_e32 v[2:3], v[4:5], v[8:9]
	s_delay_alu instid0(VALU_DEP_1) | instskip(NEXT) | instid1(VALU_DEP_1)
	v_div_scale_f64 v[4:5], null, v[2:3], v[2:3], 1.0
	v_rcp_f64_e32 v[6:7], v[4:5]
	v_nop
	s_delay_alu instid0(TRANS32_DEP_1) | instskip(NEXT) | instid1(VALU_DEP_1)
	v_fma_f64 v[24:25], -v[4:5], v[6:7], 1.0
	v_fmac_f64_e32 v[6:7], v[6:7], v[24:25]
	s_delay_alu instid0(VALU_DEP_1) | instskip(NEXT) | instid1(VALU_DEP_1)
	v_fma_f64 v[24:25], -v[4:5], v[6:7], 1.0
	v_fmac_f64_e32 v[6:7], v[6:7], v[24:25]
	v_div_scale_f64 v[24:25], vcc_lo, 1.0, v[2:3], 1.0
	s_delay_alu instid0(VALU_DEP_1) | instskip(NEXT) | instid1(VALU_DEP_1)
	v_mul_f64_e32 v[26:27], v[24:25], v[6:7]
	v_fma_f64 v[4:5], -v[4:5], v[26:27], v[24:25]
	s_delay_alu instid0(VALU_DEP_1) | instskip(NEXT) | instid1(VALU_DEP_1)
	v_div_fmas_f64 v[4:5], v[4:5], v[6:7], v[26:27]
	v_div_fixup_f64 v[6:7], v[4:5], v[2:3], 1.0
	s_delay_alu instid0(VALU_DEP_1)
	v_mul_f64_e64 v[8:9], v[8:9], -v[6:7]
.LBB29_20:                              ;   in Loop: Header=BB29_4 Depth=1
	s_or_b32 exec_lo, exec_lo, s33
.LBB29_21:                              ;   in Loop: Header=BB29_4 Depth=1
	s_delay_alu instid0(SALU_CYCLE_1)
	s_or_b32 exec_lo, exec_lo, s1
	s_branch .LBB29_23
.LBB29_22:                              ;   in Loop: Header=BB29_4 Depth=1
	v_mov_b64_e32 v[8:9], 0
	v_mov_b64_e32 v[6:7], 1.0
.LBB29_23:                              ;   in Loop: Header=BB29_4 Depth=1
	ds_store_b128 v20, v[6:9]
.LBB29_24:                              ;   in Loop: Header=BB29_4 Depth=1
	s_or_b32 exec_lo, exec_lo, s31
	v_mov_b32_e32 v6, v22
	s_mov_b32 s1, 0
	s_mov_b32 s31, 16
	s_wait_dscnt 0x0
	; wave barrier
	s_branch .LBB29_26
.LBB29_25:                              ;   in Loop: Header=BB29_26 Depth=2
	v_add_nc_u32_e32 v6, s29, v6
	s_add_co_i32 s31, s31, s30
	s_cmp_eq_u32 s1, s14
	; wave barrier
	s_cbranch_scc1 .LBB29_35
.LBB29_26:                              ;   Parent Loop BB29_4 Depth=1
                                        ; =>  This Loop Header: Depth=2
                                        ;       Child Loop BB29_31 Depth 3
	v_mov_b64_e32 v[2:3], 0
	v_mov_b64_e32 v[4:5], 0
	s_mul_i32 s33, s1, s14
	s_mov_b32 s34, exec_lo
	v_cmpx_lt_u32_e64 s1, v0
	s_cbranch_execz .LBB29_28
; %bb.27:                               ;   in Loop: Header=BB29_26 Depth=2
	s_lshl_b32 s35, s33, 4
	s_lshl_b32 s36, s1, 4
	v_add_nc_u32_e32 v7, s35, v12
	s_add_co_i32 s36, s36, s35
	s_delay_alu instid0(SALU_CYCLE_1)
	v_mov_b32_e32 v2, s36
	ds_load_b128 v[2:5], v2
	ds_load_b128 v[24:27], v7
	s_wait_dscnt 0x0
	v_mul_f64_e32 v[8:9], v[4:5], v[26:27]
	v_mul_f64_e32 v[26:27], v[2:3], v[26:27]
	s_delay_alu instid0(VALU_DEP_2) | instskip(NEXT) | instid1(VALU_DEP_2)
	v_fma_f64 v[2:3], v[2:3], v[24:25], -v[8:9]
	v_fmac_f64_e32 v[26:27], v[4:5], v[24:25]
	s_delay_alu instid0(VALU_DEP_2) | instskip(NEXT) | instid1(VALU_DEP_2)
	v_add_f64_e32 v[2:3], 0, v[2:3]
	v_add_f64_e32 v[4:5], 0, v[26:27]
.LBB29_28:                              ;   in Loop: Header=BB29_26 Depth=2
	s_or_b32 exec_lo, exec_lo, s34
	s_add_co_i32 s1, s1, 1
	s_delay_alu instid0(SALU_CYCLE_1)
	s_cmp_ge_i32 s1, s14
	; wave barrier
	s_cbranch_scc1 .LBB29_25
; %bb.29:                               ;   in Loop: Header=BB29_26 Depth=2
	v_lshl_add_u32 v7, s33, 4, v12
	v_mov_b32_e32 v8, v6
	s_mov_b32 s33, s31
	s_mov_b32 s34, s1
	s_branch .LBB29_31
.LBB29_30:                              ;   in Loop: Header=BB29_31 Depth=3
	s_or_b32 exec_lo, exec_lo, s35
	v_add_nc_u32_e32 v8, s29, v8
	s_add_co_i32 s34, s34, 1
	s_add_co_i32 s33, s33, 16
	s_cmp_eq_u32 s14, s34
	; wave barrier
	s_cbranch_scc1 .LBB29_25
.LBB29_31:                              ;   Parent Loop BB29_4 Depth=1
                                        ;     Parent Loop BB29_26 Depth=2
                                        ; =>    This Inner Loop Header: Depth=3
	s_mov_b32 s35, exec_lo
	v_cmpx_eq_u32_e64 s34, v0
	s_cbranch_execz .LBB29_33
; %bb.32:                               ;   in Loop: Header=BB29_31 Depth=3
	ds_load_b128 v[24:27], v20
	v_add_f64_e64 v[30:31], -v[2:3], 0
	s_wait_dscnt 0x0
	v_mul_f64_e32 v[28:29], v[4:5], v[26:27]
	v_mul_f64_e32 v[32:33], v[4:5], v[24:25]
	s_delay_alu instid0(VALU_DEP_2) | instskip(NEXT) | instid1(VALU_DEP_2)
	v_fmac_f64_e32 v[28:29], v[30:31], v[24:25]
	v_fma_f64 v[30:31], v[30:31], v[26:27], -v[32:33]
	ds_store_b128 v7, v[28:31]
.LBB29_33:                              ;   in Loop: Header=BB29_31 Depth=3
	s_or_b32 exec_lo, exec_lo, s35
	s_delay_alu instid0(SALU_CYCLE_1)
	s_mov_b32 s35, exec_lo
	s_wait_dscnt 0x0
	; wave barrier
	v_cmpx_lt_u32_e64 s34, v0
	s_cbranch_execz .LBB29_30
; %bb.34:                               ;   in Loop: Header=BB29_31 Depth=3
	v_mov_b32_e32 v9, s33
	ds_load_b128 v[24:27], v8
	ds_load_b128 v[28:31], v9
	s_wait_dscnt 0x0
	v_mul_f64_e32 v[32:33], v[30:31], v[26:27]
	v_mul_f64_e32 v[26:27], v[28:29], v[26:27]
	s_delay_alu instid0(VALU_DEP_2) | instskip(NEXT) | instid1(VALU_DEP_2)
	v_fma_f64 v[28:29], v[28:29], v[24:25], -v[32:33]
	v_fmac_f64_e32 v[26:27], v[30:31], v[24:25]
	s_delay_alu instid0(VALU_DEP_2) | instskip(NEXT) | instid1(VALU_DEP_2)
	v_add_f64_e32 v[2:3], v[2:3], v[28:29]
	v_add_f64_e32 v[4:5], v[4:5], v[26:27]
	s_branch .LBB29_30
.LBB29_35:                              ;   in Loop: Header=BB29_4 Depth=1
	s_and_saveexec_b32 s1, s0
	s_cbranch_execz .LBB29_2
; %bb.36:                               ;   in Loop: Header=BB29_4 Depth=1
	s_and_not1_b32 vcc_lo, exec_lo, s27
	s_mov_b32 s31, -1
	s_cbranch_vccnz .LBB29_40
; %bb.37:                               ;   in Loop: Header=BB29_4 Depth=1
	v_add_nc_u64_e32 v[2:3], v[18:19], v[16:17]
	v_mov_b32_e32 v4, v1
	s_mov_b32 s31, 0
	s_mov_b32 s33, s14
.LBB29_38:                              ;   Parent Loop BB29_4 Depth=1
                                        ; =>  This Inner Loop Header: Depth=2
	ds_load_2addr_b64 v[6:9], v4 offset1:1
	s_add_co_i32 s33, s33, -1
	v_add_nc_u32_e32 v4, s29, v4
	v_cmp_le_u32_e32 vcc_lo, s33, v0
	s_or_b32 s31, vcc_lo, s31
	s_wait_dscnt 0x0
	flat_store_b128 v[2:3], v[6:9]
	s_wait_xcnt 0x0
	v_add_nc_u64_e32 v[2:3], s[24:25], v[2:3]
	s_and_not1_b32 exec_lo, exec_lo, s31
	s_cbranch_execnz .LBB29_38
; %bb.39:                               ;   in Loop: Header=BB29_4 Depth=1
	s_or_b32 exec_lo, exec_lo, s31
	s_mov_b32 s31, 0
.LBB29_40:                              ;   in Loop: Header=BB29_4 Depth=1
	s_delay_alu instid0(SALU_CYCLE_1)
	s_and_b32 vcc_lo, exec_lo, s31
	s_cbranch_vccz .LBB29_2
; %bb.41:                               ;   in Loop: Header=BB29_4 Depth=1
	v_add_nc_u64_e32 v[2:3], s[16:17], v[18:19]
	v_dual_mov_b32 v4, v12 :: v_dual_mov_b32 v5, v21
	s_mov_b32 s31, 0
	s_delay_alu instid0(VALU_DEP_2) | instskip(NEXT) | instid1(VALU_DEP_1)
	v_add_nc_u64_e32 v[2:3], s[18:19], v[2:3]
	v_add_nc_u64_e32 v[2:3], v[2:3], v[10:11]
.LBB29_42:                              ;   Parent Loop BB29_4 Depth=1
                                        ; =>  This Inner Loop Header: Depth=2
	ds_load_2addr_b64 v[6:9], v4 offset1:1
	v_dual_add_nc_u32 v5, -1, v5 :: v_dual_add_nc_u32 v4, s29, v4
	s_delay_alu instid0(VALU_DEP_1)
	v_cmp_eq_u32_e32 vcc_lo, 0, v5
	s_or_b32 s31, vcc_lo, s31
	s_wait_dscnt 0x0
	flat_store_b128 v[2:3], v[6:9]
	s_wait_xcnt 0x0
	v_add_nc_u64_e32 v[2:3], s[22:23], v[2:3]
	s_and_not1_b32 exec_lo, exec_lo, s31
	s_cbranch_execnz .LBB29_42
	s_branch .LBB29_2
.LBB29_43:
	s_endpgm
	.section	.rodata,"a",@progbits
	.p2align	6, 0x0
	.amdhsa_kernel _ZL26rocblas_trtri_small_kernelILi16E19rocblas_complex_numIdEPKPKS1_PKPS1_Ev13rocblas_fill_17rocblas_diagonal_iT1_lillT2_lilli
		.amdhsa_group_segment_fixed_size 4096
		.amdhsa_private_segment_fixed_size 0
		.amdhsa_kernarg_size 100
		.amdhsa_user_sgpr_count 2
		.amdhsa_user_sgpr_dispatch_ptr 0
		.amdhsa_user_sgpr_queue_ptr 0
		.amdhsa_user_sgpr_kernarg_segment_ptr 1
		.amdhsa_user_sgpr_dispatch_id 0
		.amdhsa_user_sgpr_kernarg_preload_length 0
		.amdhsa_user_sgpr_kernarg_preload_offset 0
		.amdhsa_user_sgpr_private_segment_size 0
		.amdhsa_wavefront_size32 1
		.amdhsa_uses_dynamic_stack 0
		.amdhsa_enable_private_segment 0
		.amdhsa_system_sgpr_workgroup_id_x 1
		.amdhsa_system_sgpr_workgroup_id_y 0
		.amdhsa_system_sgpr_workgroup_id_z 1
		.amdhsa_system_sgpr_workgroup_info 0
		.amdhsa_system_vgpr_workitem_id 0
		.amdhsa_next_free_vgpr 34
		.amdhsa_next_free_sgpr 37
		.amdhsa_named_barrier_count 0
		.amdhsa_reserve_vcc 1
		.amdhsa_float_round_mode_32 0
		.amdhsa_float_round_mode_16_64 0
		.amdhsa_float_denorm_mode_32 3
		.amdhsa_float_denorm_mode_16_64 3
		.amdhsa_fp16_overflow 0
		.amdhsa_memory_ordered 1
		.amdhsa_forward_progress 1
		.amdhsa_inst_pref_size 15
		.amdhsa_round_robin_scheduling 0
		.amdhsa_exception_fp_ieee_invalid_op 0
		.amdhsa_exception_fp_denorm_src 0
		.amdhsa_exception_fp_ieee_div_zero 0
		.amdhsa_exception_fp_ieee_overflow 0
		.amdhsa_exception_fp_ieee_underflow 0
		.amdhsa_exception_fp_ieee_inexact 0
		.amdhsa_exception_int_div_zero 0
	.end_amdhsa_kernel
	.section	.text._ZL26rocblas_trtri_small_kernelILi16E19rocblas_complex_numIdEPKPKS1_PKPS1_Ev13rocblas_fill_17rocblas_diagonal_iT1_lillT2_lilli,"axG",@progbits,_ZL26rocblas_trtri_small_kernelILi16E19rocblas_complex_numIdEPKPKS1_PKPS1_Ev13rocblas_fill_17rocblas_diagonal_iT1_lillT2_lilli,comdat
.Lfunc_end29:
	.size	_ZL26rocblas_trtri_small_kernelILi16E19rocblas_complex_numIdEPKPKS1_PKPS1_Ev13rocblas_fill_17rocblas_diagonal_iT1_lillT2_lilli, .Lfunc_end29-_ZL26rocblas_trtri_small_kernelILi16E19rocblas_complex_numIdEPKPKS1_PKPS1_Ev13rocblas_fill_17rocblas_diagonal_iT1_lillT2_lilli
                                        ; -- End function
	.set _ZL26rocblas_trtri_small_kernelILi16E19rocblas_complex_numIdEPKPKS1_PKPS1_Ev13rocblas_fill_17rocblas_diagonal_iT1_lillT2_lilli.num_vgpr, 34
	.set _ZL26rocblas_trtri_small_kernelILi16E19rocblas_complex_numIdEPKPKS1_PKPS1_Ev13rocblas_fill_17rocblas_diagonal_iT1_lillT2_lilli.num_agpr, 0
	.set _ZL26rocblas_trtri_small_kernelILi16E19rocblas_complex_numIdEPKPKS1_PKPS1_Ev13rocblas_fill_17rocblas_diagonal_iT1_lillT2_lilli.numbered_sgpr, 37
	.set _ZL26rocblas_trtri_small_kernelILi16E19rocblas_complex_numIdEPKPKS1_PKPS1_Ev13rocblas_fill_17rocblas_diagonal_iT1_lillT2_lilli.num_named_barrier, 0
	.set _ZL26rocblas_trtri_small_kernelILi16E19rocblas_complex_numIdEPKPKS1_PKPS1_Ev13rocblas_fill_17rocblas_diagonal_iT1_lillT2_lilli.private_seg_size, 0
	.set _ZL26rocblas_trtri_small_kernelILi16E19rocblas_complex_numIdEPKPKS1_PKPS1_Ev13rocblas_fill_17rocblas_diagonal_iT1_lillT2_lilli.uses_vcc, 1
	.set _ZL26rocblas_trtri_small_kernelILi16E19rocblas_complex_numIdEPKPKS1_PKPS1_Ev13rocblas_fill_17rocblas_diagonal_iT1_lillT2_lilli.uses_flat_scratch, 0
	.set _ZL26rocblas_trtri_small_kernelILi16E19rocblas_complex_numIdEPKPKS1_PKPS1_Ev13rocblas_fill_17rocblas_diagonal_iT1_lillT2_lilli.has_dyn_sized_stack, 0
	.set _ZL26rocblas_trtri_small_kernelILi16E19rocblas_complex_numIdEPKPKS1_PKPS1_Ev13rocblas_fill_17rocblas_diagonal_iT1_lillT2_lilli.has_recursion, 0
	.set _ZL26rocblas_trtri_small_kernelILi16E19rocblas_complex_numIdEPKPKS1_PKPS1_Ev13rocblas_fill_17rocblas_diagonal_iT1_lillT2_lilli.has_indirect_call, 0
	.section	.AMDGPU.csdata,"",@progbits
; Kernel info:
; codeLenInByte = 1808
; TotalNumSgprs: 39
; NumVgprs: 34
; ScratchSize: 0
; MemoryBound: 0
; FloatMode: 240
; IeeeMode: 1
; LDSByteSize: 4096 bytes/workgroup (compile time only)
; SGPRBlocks: 0
; VGPRBlocks: 2
; NumSGPRsForWavesPerEU: 39
; NumVGPRsForWavesPerEU: 34
; NamedBarCnt: 0
; Occupancy: 16
; WaveLimiterHint : 0
; COMPUTE_PGM_RSRC2:SCRATCH_EN: 0
; COMPUTE_PGM_RSRC2:USER_SGPR: 2
; COMPUTE_PGM_RSRC2:TRAP_HANDLER: 0
; COMPUTE_PGM_RSRC2:TGID_X_EN: 1
; COMPUTE_PGM_RSRC2:TGID_Y_EN: 0
; COMPUTE_PGM_RSRC2:TGID_Z_EN: 1
; COMPUTE_PGM_RSRC2:TIDIG_COMP_CNT: 0
	.section	.text._ZL29rocblas_trtri_diagonal_kernelILi16E19rocblas_complex_numIdEPKPKS1_PKPS1_Ev13rocblas_fill_17rocblas_diagonal_iT1_lillT2_lilli,"axG",@progbits,_ZL29rocblas_trtri_diagonal_kernelILi16E19rocblas_complex_numIdEPKPKS1_PKPS1_Ev13rocblas_fill_17rocblas_diagonal_iT1_lillT2_lilli,comdat
	.globl	_ZL29rocblas_trtri_diagonal_kernelILi16E19rocblas_complex_numIdEPKPKS1_PKPS1_Ev13rocblas_fill_17rocblas_diagonal_iT1_lillT2_lilli ; -- Begin function _ZL29rocblas_trtri_diagonal_kernelILi16E19rocblas_complex_numIdEPKPKS1_PKPS1_Ev13rocblas_fill_17rocblas_diagonal_iT1_lillT2_lilli
	.p2align	8
	.type	_ZL29rocblas_trtri_diagonal_kernelILi16E19rocblas_complex_numIdEPKPKS1_PKPS1_Ev13rocblas_fill_17rocblas_diagonal_iT1_lillT2_lilli,@function
_ZL29rocblas_trtri_diagonal_kernelILi16E19rocblas_complex_numIdEPKPKS1_PKPS1_Ev13rocblas_fill_17rocblas_diagonal_iT1_lillT2_lilli: ; @_ZL29rocblas_trtri_diagonal_kernelILi16E19rocblas_complex_numIdEPKPKS1_PKPS1_Ev13rocblas_fill_17rocblas_diagonal_iT1_lillT2_lilli
; %bb.0:
	s_load_b32 s33, s[0:1], 0x60
	s_bfe_u32 s2, ttmp6, 0x40014
	s_lshr_b32 s3, ttmp7, 16
	s_add_co_i32 s2, s2, 1
	s_bfe_u32 s4, ttmp6, 0x40008
	s_mul_i32 s2, s3, s2
	s_getreg_b32 s7, hwreg(HW_REG_IB_STS2, 6, 4)
	s_add_co_i32 s4, s4, s2
	s_cmp_eq_u32 s7, 0
	s_mov_b32 s19, 0
	s_cselect_b32 s40, s3, s4
	s_wait_kmcnt 0x0
	s_cmp_ge_u32 s40, s33
	s_cbranch_scc1 .LBB30_90
; %bb.1:
	s_clause 0x2
	s_load_b96 s[4:6], s[0:1], 0x0
	s_load_b128 s[8:11], s[0:1], 0x10
	s_load_b32 s26, s[0:1], 0x20
	s_bfe_u32 s22, ttmp6, 0x4000c
	v_dual_mov_b32 v9, 0 :: v_dual_lshlrev_b32 v8, 4, v0
	s_add_co_i32 s22, s22, 1
	s_delay_alu instid0(SALU_CYCLE_1) | instskip(NEXT) | instid1(VALU_DEP_1)
	s_mul_i32 s22, ttmp9, s22
	v_dual_mov_b32 v11, v9 :: v_dual_mov_b32 v13, v9
	s_wait_kmcnt 0x0
	s_ashr_i32 s2, s6, 31
	s_ashr_i32 s27, s26, 31
	s_lshr_b32 s2, s2, 27
	s_delay_alu instid0(SALU_CYCLE_1) | instskip(NEXT) | instid1(SALU_CYCLE_1)
	s_add_co_i32 s2, s6, s2
	s_ashr_i32 s20, s2, 5
	s_delay_alu instid0(SALU_CYCLE_1) | instskip(NEXT) | instid1(SALU_CYCLE_3)
	s_cvt_f32_u32 s2, s20
	v_rcp_iflag_f32_e32 v1, s2
	s_clause 0x2
	s_load_b96 s[16:18], s[0:1], 0x40
	s_load_b128 s[12:15], s[0:1], 0x30
	s_load_b64 s[2:3], s[0:1], 0x58
	s_wait_xcnt 0x0
	s_and_b32 s0, ttmp6, 15
	s_mov_b32 s1, s19
	s_add_co_i32 s0, s0, s22
	s_sub_co_i32 s22, 0, s20
	v_nop
	v_readfirstlane_b32 s21, v1
	v_cvt_f32_ubyte0_e32 v1, v0
	s_mul_f32 s21, s21, 0x4f7ffffe
	s_delay_alu instid0(SALU_CYCLE_3) | instskip(SKIP_2) | instid1(SALU_CYCLE_1)
	s_cvt_u32_f32 s21, s21
	s_wait_kmcnt 0x0
	s_ashr_i32 s37, s18, 31
	s_mul_i32 s22, s22, s21
	s_mov_b32 s36, s18
	s_mul_hi_u32 s24, s21, s22
	s_lshl_b64 s[22:23], s[26:27], 5
	s_add_co_i32 s24, s21, s24
	s_cmp_eq_u32 s7, 0
	s_add_nc_u64 s[22:23], s[22:23], 32
	s_cselect_b32 s30, ttmp9, s0
	s_mov_b32 s7, s19
	s_mul_hi_u32 s0, s30, s24
	s_mov_b32 s21, s19
	s_mul_i32 s24, s0, s20
	s_add_co_i32 s25, s0, 1
	s_sub_co_i32 s24, s30, s24
	s_delay_alu instid0(SALU_CYCLE_1)
	s_sub_co_i32 s28, s24, s20
	s_cmp_ge_u32 s24, s20
	s_cselect_b32 s0, s25, s0
	s_cselect_b32 s18, s28, s24
	s_add_co_i32 s24, s0, 1
	s_cmp_ge_u32 s18, s20
	s_cselect_b32 s0, s24, s0
	s_lshl_b64 s[24:25], s[36:37], 5
	s_mul_i32 s18, s0, s20
	s_mul_u64 s[28:29], s[12:13], s[0:1]
	s_sub_co_i32 s18, s30, s18
	s_mul_u64 s[30:31], s[2:3], s[0:1]
	s_lshl_b32 s0, s18, 4
	s_add_nc_u64 s[12:13], s[24:25], 32
	s_sub_co_i32 s1, s6, s0
	s_mul_u64 s[24:25], s[22:23], s[18:19]
	s_mul_u64 s[34:35], s[12:13], s[18:19]
	s_min_u32 s18, s1, 16
	s_cmp_lg_u32 s6, s0
	v_cvt_f32_ubyte0_e32 v4, s18
	s_mul_u64 s[2:3], s[18:19], s[26:27]
	s_cselect_b32 s41, -1, 0
	s_lshl_b32 s45, s18, 1
	s_add_nc_u64 s[38:39], s[2:3], s[18:19]
	v_rcp_iflag_f32_e32 v5, v4
	v_mov_b32_e32 v2, s18
	v_cmp_gt_u32_e64 s2, s45, v0
	v_cmp_gt_u32_e32 vcc_lo, s18, v0
	s_mul_u64 s[12:13], s[18:19], s[36:37]
	s_cmp_lg_u32 s4, 0x7a
	s_add_nc_u64 s[46:47], s[12:13], s[18:19]
	v_mul_f32_e32 v5, v1, v5
	v_cndmask_b32_e64 v3, 0, 0x3000, s2
	v_cndmask_b32_e64 v15, s47, 0, vcc_lo
	v_cndmask_b32_e64 v14, s46, 0, vcc_lo
	s_cselect_b32 s42, -1, 0
	v_trunc_f32_e32 v5, v5
	v_cndmask_b32_e64 v6, s45, v2, s2
	v_cndmask_b32_e64 v19, v3, 0x2000, vcc_lo
	v_cndmask_b32_e64 v3, s39, 0, vcc_lo
	;; [unrolled: 1-line block ×3, first 2 shown]
	v_fma_f32 v1, -v5, v4, v1
	v_cndmask_b32_e64 v22, v6, 0, vcc_lo
	v_cvt_u32_f32_e32 v5, v5
	s_cmp_lg_u32 s5, 0x84
	v_lshlrev_b64_e32 v[2:3], 4, v[2:3]
	v_cmp_ge_f32_e64 vcc_lo, |v1|, v4
	s_cselect_b32 s43, -1, 0
	s_add_co_i32 s6, s18, -1
	s_lshl_b32 s20, s18, 4
	s_lshl_b64 s[22:23], s[28:29], 4
	v_add_co_ci_u32_e64 v1, null, 0, v5, vcc_lo
	s_lshl_b64 s[24:25], s[24:25], 4
	s_mul_i32 s38, s18, s6
	s_lshl_b64 s[28:29], s[6:7], 4
	s_mul_u64 s[6:7], s[26:27], s[6:7]
	s_add_nc_u64 s[4:5], s[22:23], s[24:25]
	s_add_nc_u64 s[28:29], s[20:21], s[28:29]
	s_lshl_b64 s[6:7], s[6:7], 4
	v_mul_lo_u16 v5, v1, s18
	s_lshl_b64 s[10:11], s[10:11], 4
	s_mul_u64 s[28:29], s[28:29], s[26:27]
	s_add_nc_u64 s[6:7], s[4:5], s[6:7]
	s_mul_i32 s0, s18, 3
	s_mul_i32 s1, s18, s18
	v_lshl_add_u32 v12, s38, 4, v8
	s_add_nc_u64 s[38:39], s[10:11], s[4:5]
	s_add_nc_u64 s[28:29], s[4:5], s[28:29]
	;; [unrolled: 1-line block ×3, first 2 shown]
	v_cmp_gt_u32_e64 s0, s0, v0
	v_cmp_gt_u32_e64 s1, s1, v0
	v_cmp_le_u32_e64 s3, s45, v0
	v_dual_sub_nc_u32 v10, v0, v22 :: v_dual_lshlrev_b32 v4, 4, v22
	v_sub_nc_u16 v0, v0, v5
	v_add_nc_u64_e32 v[6:7], s[4:5], v[2:3]
	v_add_nc_u64_e32 v[2:3], s[38:39], v[2:3]
	s_add_co_i32 s44, s18, 1
	v_dual_add_nc_u32 v16, s18, v10 :: v_dual_sub_nc_u32 v5, v12, v4
	v_and_b32_e32 v18, 0xffff, v0
	v_mul_i32_i24_e32 v20, s44, v10
	v_and_b32_e32 v12, 0xffff, v1
	v_add_nc_u64_e32 v[6:7], v[6:7], v[8:9]
	v_dual_ashrrev_i32 v17, 31, v16 :: v_dual_add_nc_u32 v36, v19, v5
	v_dual_mov_b32 v5, v9 :: v_dual_add_nc_u32 v0, s18, v18
	v_add_nc_u64_e32 v[2:3], v[2:3], v[8:9]
	v_lshl_add_u32 v35, v20, 4, v19
	v_mul_u64_e32 v[20:21], s[36:37], v[12:13]
	v_dual_lshlrev_b32 v37, 4, v18 :: v_dual_lshlrev_b32 v38, 8, v12
	v_add_lshl_u32 v22, v22, s18, 4
	s_add_nc_u64 s[38:39], s[18:19], -1
	v_sub_nc_u64_e32 v[6:7], v[6:7], v[4:5]
	s_mul_u64 s[38:39], s[38:39], s[36:37]
	s_lshl_b64 s[30:31], s[30:31], 4
	s_lshl_b64 s[38:39], s[38:39], 4
	v_sub_nc_u32_e32 v28, v22, v8
	v_sub_nc_u64_e32 v[22:23], v[2:3], v[4:5]
	v_dual_add_nc_u32 v2, s20, v8 :: v_dual_sub_nc_u32 v3, s20, v37
	s_add_nc_u64 s[38:39], s[38:39], s[30:31]
	s_lshl_b64 s[34:35], s[34:35], 4
	s_lshl_b64 s[16:17], s[16:17], 4
	s_add_nc_u64 s[38:39], s[38:39], s[34:35]
	v_add_nc_u64_e32 v[26:27], 8, v[6:7]
	v_sub_nc_u32_e32 v7, v2, v4
	v_mul_lo_u32 v6, s18, v3
	s_add_nc_u64 s[38:39], s[16:17], s[38:39]
	s_add_nc_u64 s[28:29], s[28:29], s[10:11]
	v_lshl_add_u64 v[2:3], v[14:15], 4, s[38:39]
	v_cmp_gt_u16_e64 s6, 16, v1
	v_mul_u32_u24_e32 v1, s18, v12
	v_add_nc_u64_e32 v[24:25], s[28:29], v[8:9]
	v_add3_u32 v39, v28, v19, -16
	v_add_nc_u64_e32 v[2:3], v[2:3], v[8:9]
	s_movk_i32 s7, 0x110
	v_dual_lshlrev_b32 v1, 4, v1 :: v_dual_add_nc_u32 v43, -1, v18
	v_dual_sub_nc_u32 v6, v6, v37 :: v_dual_add_nc_u32 v48, 1, v10
	v_sub_nc_u64_e32 v[24:25], v[24:25], v[4:5]
	s_delay_alu instid0(VALU_DEP_4)
	v_sub_nc_u64_e32 v[28:29], v[2:3], v[4:5]
	v_lshl_add_u32 v34, v10, 4, v19
	v_cmp_gt_i32_e64 s4, s18, v10
	v_cmp_lt_i32_e64 s5, -1, v10
	v_add_nc_u32_e32 v13, 0x1000, v37
	v_dual_add_nc_u32 v40, v19, v7 :: v_dual_bitop2_b32 v22, 8, v22 bitop3:0x54
	v_mad_u32_u24 v41, v12, s7, 0x2000
	v_dual_add_nc_u32 v42, v38, v37 :: v_dual_lshlrev_b32 v30, 4, v18
	v_add3_u32 v44, v1, v37, 0x1000
	v_add_nc_u32_e32 v45, 0x1ff0, v6
	v_add_nc_u32_e32 v46, 0x1000, v1
	;; [unrolled: 1-line block ×3, first 2 shown]
	v_lshlrev_b32_e32 v8, 4, v0
	s_lshl_b64 s[26:27], s[26:27], 4
	s_lshl_b64 s[36:37], s[36:37], 4
	s_sub_co_i32 s21, 0, s20
	s_sub_nc_u64 s[28:29], 0, s[26:27]
	s_add_co_i32 s19, s20, 16
	s_sub_nc_u64 s[38:39], 0, s[36:37]
	s_branch .LBB30_4
.LBB30_2:                               ;   in Loop: Header=BB30_4 Depth=1
	s_or_b32 exec_lo, exec_lo, s7
.LBB30_3:                               ;   in Loop: Header=BB30_4 Depth=1
	s_add_co_i32 s40, s40, 0x10000
	s_delay_alu instid0(SALU_CYCLE_1)
	s_cmp_lt_u32 s40, s33
	s_cbranch_scc0 .LBB30_90
.LBB30_4:                               ; =>This Loop Header: Depth=1
                                        ;     Child Loop BB30_9 Depth 2
                                        ;     Child Loop BB30_13 Depth 2
                                        ;     Child Loop BB30_19 Depth 2
                                        ;     Child Loop BB30_25 Depth 2
                                        ;     Child Loop BB30_41 Depth 2
                                        ;       Child Loop BB30_46 Depth 3
                                        ;     Child Loop BB30_53 Depth 2
                                        ;     Child Loop BB30_60 Depth 2
	;; [unrolled: 1-line block ×6, first 2 shown]
	s_and_not1_b32 vcc_lo, exec_lo, s41
	s_cbranch_vccnz .LBB30_3
; %bb.5:                                ;   in Loop: Header=BB30_4 Depth=1
	v_mov_b32_e32 v0, s40
	s_clause 0x1
	global_load_b64 v[4:5], v0, s[8:9] scale_offset
	global_load_b64 v[32:33], v0, s[14:15] scale_offset
	s_wait_xcnt 0x0
	s_and_saveexec_b32 s7, s3
	s_delay_alu instid0(SALU_CYCLE_1)
	s_xor_b32 s7, exec_lo, s7
	s_cbranch_execz .LBB30_15
; %bb.6:                                ;   in Loop: Header=BB30_4 Depth=1
	s_and_saveexec_b32 s45, s0
	s_cbranch_execz .LBB30_14
; %bb.7:                                ;   in Loop: Header=BB30_4 Depth=1
	s_and_not1_b32 vcc_lo, exec_lo, s42
	s_mov_b32 s46, -1
	s_cbranch_vccnz .LBB30_11
; %bb.8:                                ;   in Loop: Header=BB30_4 Depth=1
	s_wait_loadcnt 0x1
	v_add_nc_u64_e32 v[0:1], v[4:5], v[24:25]
	v_mov_b32_e32 v2, v36
	s_mov_b32 s46, s44
.LBB30_9:                               ;   Parent Loop BB30_4 Depth=1
                                        ; =>  This Inner Loop Header: Depth=2
	flat_load_b128 v[50:53], v[0:1]
	s_wait_xcnt 0x0
	v_add_nc_u64_e32 v[0:1], s[28:29], v[0:1]
	s_add_co_i32 s46, s46, -1
	s_delay_alu instid0(SALU_CYCLE_1)
	s_cmp_gt_u32 s46, 1
	s_wait_loadcnt_dscnt 0x0
	ds_store_2addr_b64 v2, v[50:51], v[52:53] offset1:1
	v_add_nc_u32_e32 v2, s21, v2
	s_cbranch_scc1 .LBB30_9
; %bb.10:                               ;   in Loop: Header=BB30_4 Depth=1
	s_mov_b32 s46, 0
.LBB30_11:                              ;   in Loop: Header=BB30_4 Depth=1
	s_delay_alu instid0(SALU_CYCLE_1)
	s_and_b32 vcc_lo, exec_lo, s46
	s_cbranch_vccz .LBB30_14
; %bb.12:                               ;   in Loop: Header=BB30_4 Depth=1
	s_wait_loadcnt 0x1
	v_add_nc_u64_e32 v[0:1], s[10:11], v[4:5]
	v_mov_b32_e32 v2, v34
	s_mov_b32 s46, s18
	s_delay_alu instid0(VALU_DEP_2) | instskip(NEXT) | instid1(VALU_DEP_1)
	v_add_nc_u64_e32 v[0:1], s[24:25], v[0:1]
	v_add_nc_u64_e32 v[0:1], s[22:23], v[0:1]
	s_delay_alu instid0(VALU_DEP_1)
	v_lshl_add_u64 v[0:1], v[16:17], 4, v[0:1]
.LBB30_13:                              ;   Parent Loop BB30_4 Depth=1
                                        ; =>  This Inner Loop Header: Depth=2
	flat_load_b128 v[4:7], v[0:1]
	s_wait_xcnt 0x0
	v_add_nc_u64_e32 v[0:1], s[26:27], v[0:1]
	s_add_co_i32 s46, s46, -1
	s_delay_alu instid0(SALU_CYCLE_1)
	s_cmp_eq_u32 s46, 0
	s_wait_loadcnt_dscnt 0x0
	ds_store_2addr_b64 v2, v[4:5], v[6:7] offset1:1
	v_add_nc_u32_e32 v2, s20, v2
	s_cbranch_scc0 .LBB30_13
.LBB30_14:                              ;   in Loop: Header=BB30_4 Depth=1
	s_or_b32 exec_lo, exec_lo, s45
                                        ; implicit-def: $vgpr4_vgpr5
.LBB30_15:                              ;   in Loop: Header=BB30_4 Depth=1
	s_and_not1_saveexec_b32 s7, s7
	s_cbranch_execz .LBB30_27
; %bb.16:                               ;   in Loop: Header=BB30_4 Depth=1
	s_and_b32 vcc_lo, exec_lo, s42
	s_mov_b32 s45, -1
	s_cbranch_vccz .LBB30_22
; %bb.17:                               ;   in Loop: Header=BB30_4 Depth=1
	s_wait_loadcnt 0x1
	v_add_nc_u64_e32 v[6:7], v[4:5], v[26:27]
	v_mov_b32_e32 v31, v39
	s_mov_b32 s45, s18
	s_branch .LBB30_19
.LBB30_18:                              ;   in Loop: Header=BB30_19 Depth=2
	s_wait_xcnt 0x0
	s_or_b32 exec_lo, exec_lo, s46
	v_add_nc_u64_e32 v[6:7], s[28:29], v[6:7]
	s_wait_loadcnt_dscnt 0x0
	ds_store_b128 v31, v[0:3]
	v_add_nc_u32_e32 v31, s20, v31
	s_cmp_lt_i32 s45, 1
	s_cbranch_scc1 .LBB30_21
.LBB30_19:                              ;   Parent Loop BB30_4 Depth=1
                                        ; =>  This Inner Loop Header: Depth=2
	v_mov_b64_e32 v[0:1], 0
	v_mov_b64_e32 v[2:3], 0
	s_add_co_i32 s45, s45, -1
	s_mov_b32 s46, exec_lo
	v_cmpx_ge_i32_e64 s45, v10
	s_cbranch_execz .LBB30_18
; %bb.20:                               ;   in Loop: Header=BB30_19 Depth=2
	flat_load_b128 v[0:3], v[6:7] offset:-8
	s_branch .LBB30_18
.LBB30_21:                              ;   in Loop: Header=BB30_4 Depth=1
	s_mov_b32 s45, 0
.LBB30_22:                              ;   in Loop: Header=BB30_4 Depth=1
	s_delay_alu instid0(SALU_CYCLE_1)
	s_and_b32 vcc_lo, exec_lo, s45
	s_cbranch_vccz .LBB30_27
; %bb.23:                               ;   in Loop: Header=BB30_4 Depth=1
	s_wait_loadcnt 0x1
	v_add_nc_u64_e32 v[4:5], v[4:5], v[22:23]
	v_mov_b32_e32 v6, v34
	s_mov_b32 s45, 0
	s_branch .LBB30_25
.LBB30_24:                              ;   in Loop: Header=BB30_25 Depth=2
	s_wait_xcnt 0x0
	s_or_b32 exec_lo, exec_lo, s46
	v_add_nc_u64_e32 v[4:5], s[26:27], v[4:5]
	s_wait_loadcnt_dscnt 0x0
	ds_store_b128 v6, v[0:3]
	v_add_nc_u32_e32 v6, s20, v6
	s_add_co_i32 s45, s45, 1
	s_delay_alu instid0(SALU_CYCLE_1)
	s_cmp_eq_u32 s18, s45
	s_cbranch_scc1 .LBB30_27
.LBB30_25:                              ;   Parent Loop BB30_4 Depth=1
                                        ; =>  This Inner Loop Header: Depth=2
	v_mov_b64_e32 v[0:1], 0
	v_mov_b64_e32 v[2:3], 0
	s_mov_b32 s46, exec_lo
	v_cmpx_le_i32_e64 s45, v10
	s_cbranch_execz .LBB30_24
; %bb.26:                               ;   in Loop: Header=BB30_25 Depth=2
	flat_load_b128 v[0:3], v[4:5] offset:-8
	s_branch .LBB30_24
.LBB30_27:                              ;   in Loop: Header=BB30_4 Depth=1
	s_or_b32 exec_lo, exec_lo, s7
	s_wait_loadcnt_dscnt 0x0
	s_barrier_signal -1
	s_barrier_wait -1
	s_and_saveexec_b32 s45, s2
	s_cbranch_execz .LBB30_38
; %bb.28:                               ;   in Loop: Header=BB30_4 Depth=1
	s_and_not1_b32 vcc_lo, exec_lo, s43
	s_cbranch_vccnz .LBB30_36
; %bb.29:                               ;   in Loop: Header=BB30_4 Depth=1
	ds_load_b128 v[0:3], v35
	v_mov_b64_e32 v[6:7], 0
	v_mov_b64_e32 v[4:5], 1.0
	s_wait_dscnt 0x0
	v_cmp_neq_f64_e32 vcc_lo, 0, v[0:1]
	v_cmp_neq_f64_e64 s7, 0, v[2:3]
	s_or_b32 s46, vcc_lo, s7
	s_delay_alu instid0(SALU_CYCLE_1)
	s_and_saveexec_b32 s7, s46
	s_cbranch_execz .LBB30_35
; %bb.30:                               ;   in Loop: Header=BB30_4 Depth=1
	v_cmp_ngt_f64_e64 s46, |v[0:1]|, |v[2:3]|
                                        ; implicit-def: $vgpr6_vgpr7
	s_and_saveexec_b32 s47, s46
	s_delay_alu instid0(SALU_CYCLE_1)
	s_xor_b32 s46, exec_lo, s47
	s_cbranch_execz .LBB30_32
; %bb.31:                               ;   in Loop: Header=BB30_4 Depth=1
	v_div_scale_f64 v[4:5], null, v[2:3], v[2:3], v[0:1]
	v_div_scale_f64 v[52:53], vcc_lo, v[0:1], v[2:3], v[0:1]
	s_delay_alu instid0(VALU_DEP_2) | instskip(SKIP_1) | instid1(TRANS32_DEP_1)
	v_rcp_f64_e32 v[6:7], v[4:5]
	v_nop
	v_fma_f64 v[50:51], -v[4:5], v[6:7], 1.0
	s_delay_alu instid0(VALU_DEP_1) | instskip(NEXT) | instid1(VALU_DEP_1)
	v_fmac_f64_e32 v[6:7], v[6:7], v[50:51]
	v_fma_f64 v[50:51], -v[4:5], v[6:7], 1.0
	s_delay_alu instid0(VALU_DEP_1) | instskip(NEXT) | instid1(VALU_DEP_1)
	v_fmac_f64_e32 v[6:7], v[6:7], v[50:51]
	v_mul_f64_e32 v[50:51], v[52:53], v[6:7]
	s_delay_alu instid0(VALU_DEP_1) | instskip(NEXT) | instid1(VALU_DEP_1)
	v_fma_f64 v[4:5], -v[4:5], v[50:51], v[52:53]
	v_div_fmas_f64 v[4:5], v[4:5], v[6:7], v[50:51]
	s_delay_alu instid0(VALU_DEP_1) | instskip(NEXT) | instid1(VALU_DEP_1)
	v_div_fixup_f64 v[4:5], v[4:5], v[2:3], v[0:1]
	v_fmac_f64_e32 v[2:3], v[0:1], v[4:5]
	s_delay_alu instid0(VALU_DEP_1) | instskip(NEXT) | instid1(VALU_DEP_1)
	v_div_scale_f64 v[0:1], null, v[2:3], v[2:3], 1.0
	v_rcp_f64_e32 v[6:7], v[0:1]
	v_nop
	s_delay_alu instid0(TRANS32_DEP_1) | instskip(NEXT) | instid1(VALU_DEP_1)
	v_fma_f64 v[50:51], -v[0:1], v[6:7], 1.0
	v_fmac_f64_e32 v[6:7], v[6:7], v[50:51]
	s_delay_alu instid0(VALU_DEP_1) | instskip(NEXT) | instid1(VALU_DEP_1)
	v_fma_f64 v[50:51], -v[0:1], v[6:7], 1.0
	v_fmac_f64_e32 v[6:7], v[6:7], v[50:51]
	v_div_scale_f64 v[50:51], vcc_lo, 1.0, v[2:3], 1.0
	s_delay_alu instid0(VALU_DEP_1) | instskip(NEXT) | instid1(VALU_DEP_1)
	v_mul_f64_e32 v[52:53], v[50:51], v[6:7]
	v_fma_f64 v[0:1], -v[0:1], v[52:53], v[50:51]
	s_delay_alu instid0(VALU_DEP_1) | instskip(NEXT) | instid1(VALU_DEP_1)
	v_div_fmas_f64 v[0:1], v[0:1], v[6:7], v[52:53]
	v_div_fixup_f64 v[6:7], v[0:1], v[2:3], 1.0
                                        ; implicit-def: $vgpr0_vgpr1
	s_delay_alu instid0(VALU_DEP_1)
	v_mul_f64_e32 v[4:5], v[4:5], v[6:7]
	v_xor_b32_e32 v7, 0x80000000, v7
.LBB30_32:                              ;   in Loop: Header=BB30_4 Depth=1
	s_and_not1_saveexec_b32 s46, s46
	s_cbranch_execz .LBB30_34
; %bb.33:                               ;   in Loop: Header=BB30_4 Depth=1
	v_div_scale_f64 v[4:5], null, v[0:1], v[0:1], v[2:3]
	v_div_scale_f64 v[52:53], vcc_lo, v[2:3], v[0:1], v[2:3]
	s_delay_alu instid0(VALU_DEP_2) | instskip(SKIP_1) | instid1(TRANS32_DEP_1)
	v_rcp_f64_e32 v[6:7], v[4:5]
	v_nop
	v_fma_f64 v[50:51], -v[4:5], v[6:7], 1.0
	s_delay_alu instid0(VALU_DEP_1) | instskip(NEXT) | instid1(VALU_DEP_1)
	v_fmac_f64_e32 v[6:7], v[6:7], v[50:51]
	v_fma_f64 v[50:51], -v[4:5], v[6:7], 1.0
	s_delay_alu instid0(VALU_DEP_1) | instskip(NEXT) | instid1(VALU_DEP_1)
	v_fmac_f64_e32 v[6:7], v[6:7], v[50:51]
	v_mul_f64_e32 v[50:51], v[52:53], v[6:7]
	s_delay_alu instid0(VALU_DEP_1) | instskip(NEXT) | instid1(VALU_DEP_1)
	v_fma_f64 v[4:5], -v[4:5], v[50:51], v[52:53]
	v_div_fmas_f64 v[4:5], v[4:5], v[6:7], v[50:51]
	s_delay_alu instid0(VALU_DEP_1) | instskip(NEXT) | instid1(VALU_DEP_1)
	v_div_fixup_f64 v[6:7], v[4:5], v[0:1], v[2:3]
	v_fmac_f64_e32 v[0:1], v[2:3], v[6:7]
	s_delay_alu instid0(VALU_DEP_1) | instskip(NEXT) | instid1(VALU_DEP_1)
	v_div_scale_f64 v[2:3], null, v[0:1], v[0:1], 1.0
	v_rcp_f64_e32 v[4:5], v[2:3]
	v_nop
	s_delay_alu instid0(TRANS32_DEP_1) | instskip(NEXT) | instid1(VALU_DEP_1)
	v_fma_f64 v[50:51], -v[2:3], v[4:5], 1.0
	v_fmac_f64_e32 v[4:5], v[4:5], v[50:51]
	s_delay_alu instid0(VALU_DEP_1) | instskip(NEXT) | instid1(VALU_DEP_1)
	v_fma_f64 v[50:51], -v[2:3], v[4:5], 1.0
	v_fmac_f64_e32 v[4:5], v[4:5], v[50:51]
	v_div_scale_f64 v[50:51], vcc_lo, 1.0, v[0:1], 1.0
	s_delay_alu instid0(VALU_DEP_1) | instskip(NEXT) | instid1(VALU_DEP_1)
	v_mul_f64_e32 v[52:53], v[50:51], v[4:5]
	v_fma_f64 v[2:3], -v[2:3], v[52:53], v[50:51]
	s_delay_alu instid0(VALU_DEP_1) | instskip(NEXT) | instid1(VALU_DEP_1)
	v_div_fmas_f64 v[2:3], v[2:3], v[4:5], v[52:53]
	v_div_fixup_f64 v[4:5], v[2:3], v[0:1], 1.0
	s_delay_alu instid0(VALU_DEP_1)
	v_mul_f64_e64 v[6:7], v[6:7], -v[4:5]
.LBB30_34:                              ;   in Loop: Header=BB30_4 Depth=1
	s_or_b32 exec_lo, exec_lo, s46
.LBB30_35:                              ;   in Loop: Header=BB30_4 Depth=1
	s_delay_alu instid0(SALU_CYCLE_1)
	s_or_b32 exec_lo, exec_lo, s7
	s_branch .LBB30_37
.LBB30_36:                              ;   in Loop: Header=BB30_4 Depth=1
	v_mov_b64_e32 v[6:7], 0
	v_mov_b64_e32 v[4:5], 1.0
.LBB30_37:                              ;   in Loop: Header=BB30_4 Depth=1
	ds_store_b128 v35, v[4:7]
.LBB30_38:                              ;   in Loop: Header=BB30_4 Depth=1
	s_or_b32 exec_lo, exec_lo, s45
	s_wait_dscnt 0x0
	s_barrier_signal -1
	s_barrier_wait -1
	s_and_saveexec_b32 s7, s2
	s_cbranch_execz .LBB30_50
; %bb.39:                               ;   in Loop: Header=BB30_4 Depth=1
	v_dual_mov_b32 v5, v40 :: v_dual_bitop2_b32 v4, 16, v19 bitop3:0x54
	s_mov_b32 s45, 0
	s_branch .LBB30_41
.LBB30_40:                              ;   in Loop: Header=BB30_41 Depth=2
	v_dual_add_nc_u32 v5, s20, v5 :: v_dual_add_nc_u32 v4, s19, v4
	s_cmp_eq_u32 s45, s18
	s_cbranch_scc1 .LBB30_50
.LBB30_41:                              ;   Parent Loop BB30_4 Depth=1
                                        ; =>  This Loop Header: Depth=2
                                        ;       Child Loop BB30_46 Depth 3
	v_mov_b64_e32 v[0:1], 0
	v_mov_b64_e32 v[2:3], 0
	s_mul_i32 s46, s45, s18
	s_mov_b32 s47, exec_lo
	v_cmpx_lt_i32_e64 s45, v10
	s_cbranch_execz .LBB30_43
; %bb.42:                               ;   in Loop: Header=BB30_41 Depth=2
	s_lshl_b32 s48, s46, 4
	s_lshl_b32 s49, s45, 4
	v_add_nc_u32_e32 v6, s48, v34
	v_add3_u32 v0, s48, s49, v19
	ds_load_b128 v[0:3], v0
	ds_load_b128 v[50:53], v6
	s_wait_dscnt 0x0
	v_mul_f64_e32 v[6:7], v[2:3], v[52:53]
	v_mul_f64_e32 v[52:53], v[0:1], v[52:53]
	s_delay_alu instid0(VALU_DEP_2) | instskip(NEXT) | instid1(VALU_DEP_2)
	v_fma_f64 v[0:1], v[0:1], v[50:51], -v[6:7]
	v_fmac_f64_e32 v[52:53], v[2:3], v[50:51]
	s_delay_alu instid0(VALU_DEP_2) | instskip(NEXT) | instid1(VALU_DEP_2)
	v_add_f64_e32 v[0:1], 0, v[0:1]
	v_add_f64_e32 v[2:3], 0, v[52:53]
.LBB30_43:                              ;   in Loop: Header=BB30_41 Depth=2
	s_or_b32 exec_lo, exec_lo, s47
	s_add_co_i32 s45, s45, 1
	s_delay_alu instid0(SALU_CYCLE_1)
	s_cmp_ge_u32 s45, s18
	s_cbranch_scc1 .LBB30_40
; %bb.44:                               ;   in Loop: Header=BB30_41 Depth=2
	v_lshl_add_u32 v6, s46, 4, v34
	v_dual_mov_b32 v7, v4 :: v_dual_mov_b32 v31, v5
	s_mov_b32 s46, s45
	s_branch .LBB30_46
.LBB30_45:                              ;   in Loop: Header=BB30_46 Depth=3
	s_or_b32 exec_lo, exec_lo, s47
	v_add_nc_u32_e32 v31, s20, v31
	v_add_nc_u32_e32 v7, 16, v7
	s_add_co_i32 s46, s46, 1
	s_delay_alu instid0(SALU_CYCLE_1)
	s_cmp_eq_u32 s18, s46
	s_cbranch_scc1 .LBB30_40
.LBB30_46:                              ;   Parent Loop BB30_4 Depth=1
                                        ;     Parent Loop BB30_41 Depth=2
                                        ; =>    This Inner Loop Header: Depth=3
	s_mov_b32 s47, exec_lo
	v_cmpx_eq_u32_e64 s46, v10
	s_cbranch_execz .LBB30_48
; %bb.47:                               ;   in Loop: Header=BB30_46 Depth=3
	ds_load_b128 v[50:53], v35
	v_add_f64_e64 v[56:57], -v[0:1], 0
	s_wait_dscnt 0x0
	v_mul_f64_e32 v[54:55], v[2:3], v[52:53]
	v_mul_f64_e32 v[58:59], v[2:3], v[50:51]
	s_delay_alu instid0(VALU_DEP_2) | instskip(NEXT) | instid1(VALU_DEP_2)
	v_fmac_f64_e32 v[54:55], v[56:57], v[50:51]
	v_fma_f64 v[56:57], v[56:57], v[52:53], -v[58:59]
	ds_store_b128 v6, v[54:57]
.LBB30_48:                              ;   in Loop: Header=BB30_46 Depth=3
	s_or_b32 exec_lo, exec_lo, s47
	s_delay_alu instid0(SALU_CYCLE_1)
	s_mov_b32 s47, exec_lo
	v_cmpx_lt_i32_e64 s46, v10
	s_cbranch_execz .LBB30_45
; %bb.49:                               ;   in Loop: Header=BB30_46 Depth=3
	ds_load_b128 v[50:53], v7
	ds_load_b128 v[54:57], v31
	s_wait_dscnt 0x0
	v_mul_f64_e32 v[58:59], v[52:53], v[56:57]
	v_mul_f64_e32 v[56:57], v[50:51], v[56:57]
	s_delay_alu instid0(VALU_DEP_2) | instskip(NEXT) | instid1(VALU_DEP_2)
	v_fma_f64 v[50:51], v[50:51], v[54:55], -v[58:59]
	v_fmac_f64_e32 v[56:57], v[52:53], v[54:55]
	s_delay_alu instid0(VALU_DEP_2) | instskip(NEXT) | instid1(VALU_DEP_2)
	v_add_f64_e32 v[0:1], v[0:1], v[50:51]
	v_add_f64_e32 v[2:3], v[2:3], v[56:57]
	s_branch .LBB30_45
.LBB30_50:                              ;   in Loop: Header=BB30_4 Depth=1
	s_or_b32 exec_lo, exec_lo, s7
	s_delay_alu instid0(SALU_CYCLE_1)
	s_and_b32 vcc_lo, exec_lo, s42
	s_wait_dscnt 0x0
	s_barrier_signal -1
	s_barrier_wait -1
	s_cbranch_vccz .LBB30_56
; %bb.51:                               ;   in Loop: Header=BB30_4 Depth=1
	s_mov_b32 s45, 0
	s_mov_b32 s7, 0
                                        ; implicit-def: $vgpr0_vgpr1
	s_and_saveexec_b32 s46, s1
	s_cbranch_execz .LBB30_55
; %bb.52:                               ;   in Loop: Header=BB30_4 Depth=1
	v_mov_b64_e32 v[0:1], 0
	v_mov_b64_e32 v[2:3], 0
	v_dual_mov_b32 v4, v37 :: v_dual_sub_nc_u32 v5, 0x3ff0, v38
	s_mov_b32 s47, -1
.LBB30_53:                              ;   Parent Loop BB30_4 Depth=1
                                        ; =>  This Inner Loop Header: Depth=2
	ds_load_b128 v[50:53], v5
	ds_load_b128 v[54:57], v4
	s_add_co_i32 s47, s47, 1
	v_add_nc_u32_e32 v4, 0x100, v4
	v_cmp_ge_u32_e32 vcc_lo, s47, v12
	v_add_nc_u32_e32 v5, -16, v5
	s_or_b32 s7, vcc_lo, s7
	s_wait_dscnt 0x0
	v_mul_f64_e32 v[6:7], v[52:53], v[56:57]
	v_mul_f64_e32 v[56:57], v[50:51], v[56:57]
	s_delay_alu instid0(VALU_DEP_2) | instskip(NEXT) | instid1(VALU_DEP_2)
	v_fma_f64 v[6:7], v[50:51], v[54:55], -v[6:7]
	v_fmac_f64_e32 v[56:57], v[52:53], v[54:55]
	s_delay_alu instid0(VALU_DEP_2) | instskip(NEXT) | instid1(VALU_DEP_2)
	v_add_f64_e32 v[2:3], v[2:3], v[6:7]
	v_add_f64_e32 v[0:1], v[0:1], v[56:57]
	s_and_not1_b32 exec_lo, exec_lo, s7
	s_cbranch_execnz .LBB30_53
; %bb.54:                               ;   in Loop: Header=BB30_4 Depth=1
	s_or_b32 exec_lo, exec_lo, s7
	v_add_nc_u32_e32 v4, v13, v38
	s_mov_b32 s7, exec_lo
	ds_store_b64 v4, v[2:3]
.LBB30_55:                              ;   in Loop: Header=BB30_4 Depth=1
	s_or_b32 exec_lo, exec_lo, s46
	s_delay_alu instid0(SALU_CYCLE_1)
	s_and_b32 vcc_lo, exec_lo, s45
	s_cbranch_vccnz .LBB30_57
	s_branch .LBB30_64
.LBB30_56:                              ;   in Loop: Header=BB30_4 Depth=1
	s_mov_b32 s7, 0
                                        ; implicit-def: $vgpr0_vgpr1
	s_cbranch_execz .LBB30_64
.LBB30_57:                              ;   in Loop: Header=BB30_4 Depth=1
                                        ; implicit-def: $vgpr0_vgpr1
	s_and_saveexec_b32 s45, s1
	s_cbranch_execz .LBB30_63
; %bb.58:                               ;   in Loop: Header=BB30_4 Depth=1
	v_mov_b64_e32 v[0:1], 0
	v_mov_b64_e32 v[2:3], 0
	s_and_saveexec_b32 s46, s6
	s_cbranch_execz .LBB30_62
; %bb.59:                               ;   in Loop: Header=BB30_4 Depth=1
	v_mov_b64_e32 v[0:1], 0
	v_mov_b64_e32 v[2:3], 0
	v_dual_add_nc_u32 v6, -1, v12 :: v_dual_mov_b32 v4, v42
	v_mov_b32_e32 v5, v41
	s_mov_b32 s47, 0
.LBB30_60:                              ;   Parent Loop BB30_4 Depth=1
                                        ; =>  This Inner Loop Header: Depth=2
	ds_load_b128 v[50:53], v5
	ds_load_b128 v[54:57], v4
	v_add_nc_u32_e32 v4, 0x100, v4
	v_dual_add_nc_u32 v6, 1, v6 :: v_dual_add_nc_u32 v5, 16, v5
	s_delay_alu instid0(VALU_DEP_1) | instskip(SKIP_4) | instid1(VALU_DEP_2)
	v_cmp_lt_u32_e32 vcc_lo, 14, v6
	s_or_b32 s47, vcc_lo, s47
	s_wait_dscnt 0x0
	v_mul_f64_e32 v[58:59], v[52:53], v[56:57]
	v_mul_f64_e32 v[56:57], v[50:51], v[56:57]
	v_fma_f64 v[50:51], v[50:51], v[54:55], -v[58:59]
	s_delay_alu instid0(VALU_DEP_2) | instskip(NEXT) | instid1(VALU_DEP_2)
	v_fmac_f64_e32 v[56:57], v[52:53], v[54:55]
	v_add_f64_e32 v[2:3], v[2:3], v[50:51]
	s_delay_alu instid0(VALU_DEP_2)
	v_add_f64_e32 v[0:1], v[0:1], v[56:57]
	s_and_not1_b32 exec_lo, exec_lo, s47
	s_cbranch_execnz .LBB30_60
; %bb.61:                               ;   in Loop: Header=BB30_4 Depth=1
	s_or_b32 exec_lo, exec_lo, s47
.LBB30_62:                              ;   in Loop: Header=BB30_4 Depth=1
	s_delay_alu instid0(SALU_CYCLE_1)
	s_or_b32 exec_lo, exec_lo, s46
	v_add_nc_u32_e32 v4, v13, v38
	s_or_b32 s7, s7, exec_lo
	ds_store_b64 v4, v[2:3]
.LBB30_63:                              ;   in Loop: Header=BB30_4 Depth=1
	s_or_b32 exec_lo, exec_lo, s45
.LBB30_64:                              ;   in Loop: Header=BB30_4 Depth=1
	s_and_saveexec_b32 s45, s7
; %bb.65:                               ;   in Loop: Header=BB30_4 Depth=1
	v_add_nc_u32_e32 v2, v13, v38
	ds_store_b64 v2, v[0:1] offset:8
; %bb.66:                               ;   in Loop: Header=BB30_4 Depth=1
	s_or_b32 exec_lo, exec_lo, s45
	v_add_nc_u64_e32 v[0:1], s[16:17], v[32:33]
	s_and_b32 vcc_lo, exec_lo, s42
	s_wait_dscnt 0x0
	s_barrier_signal -1
	s_barrier_wait -1
	s_delay_alu instid0(VALU_DEP_1) | instskip(NEXT) | instid1(VALU_DEP_1)
	v_add_nc_u64_e32 v[0:1], s[34:35], v[0:1]
	v_add_nc_u64_e32 v[0:1], s[30:31], v[0:1]
	s_cbranch_vccz .LBB30_72
; %bb.67:                               ;   in Loop: Header=BB30_4 Depth=1
	s_mov_b32 s45, 0
	s_mov_b32 s7, 0
                                        ; implicit-def: $vgpr2_vgpr3
                                        ; implicit-def: $vgpr4_vgpr5
	s_and_saveexec_b32 s46, s1
	s_cbranch_execz .LBB30_71
; %bb.68:                               ;   in Loop: Header=BB30_4 Depth=1
	v_mov_b64_e32 v[6:7], 0
	v_mov_b64_e32 v[2:3], 0
	v_dual_mov_b32 v4, v45 :: v_dual_mov_b32 v5, v44
	v_mov_b32_e32 v31, v43
.LBB30_69:                              ;   Parent Loop BB30_4 Depth=1
                                        ; =>  This Inner Loop Header: Depth=2
	ds_load_b128 v[50:53], v4
	ds_load_b128 v[54:57], v5
	v_dual_add_nc_u32 v31, 1, v31 :: v_dual_add_nc_u32 v5, 16, v5
	v_add_nc_u32_e32 v4, s21, v4
	s_delay_alu instid0(VALU_DEP_2) | instskip(SKIP_4) | instid1(VALU_DEP_2)
	v_cmp_lt_u32_e32 vcc_lo, 14, v31
	s_or_b32 s7, vcc_lo, s7
	s_wait_dscnt 0x0
	v_mul_f64_e32 v[58:59], v[50:51], v[54:55]
	v_mul_f64_e32 v[50:51], v[50:51], v[56:57]
	v_fma_f64 v[56:57], v[52:53], v[56:57], -v[58:59]
	s_delay_alu instid0(VALU_DEP_2) | instskip(NEXT) | instid1(VALU_DEP_2)
	v_fma_f64 v[50:51], v[54:55], -v[52:53], -v[50:51]
	v_add_f64_e32 v[6:7], v[6:7], v[56:57]
	s_delay_alu instid0(VALU_DEP_2)
	v_add_f64_e32 v[2:3], v[2:3], v[50:51]
	s_and_not1_b32 exec_lo, exec_lo, s7
	s_cbranch_execnz .LBB30_69
; %bb.70:                               ;   in Loop: Header=BB30_4 Depth=1
	s_or_b32 exec_lo, exec_lo, s7
	s_lshl_b64 s[48:49], s[12:13], 4
	v_mov_b32_e32 v31, v9
	v_add_nc_u64_e32 v[4:5], s[48:49], v[0:1]
	s_mov_b32 s7, exec_lo
	s_delay_alu instid0(VALU_DEP_1) | instskip(NEXT) | instid1(VALU_DEP_1)
	v_add_nc_u64_e32 v[4:5], v[4:5], v[30:31]
	v_lshl_add_u64 v[4:5], v[20:21], 4, v[4:5]
	flat_store_b64 v[4:5], v[6:7]
.LBB30_71:                              ;   in Loop: Header=BB30_4 Depth=1
	s_wait_xcnt 0x0
	s_or_b32 exec_lo, exec_lo, s46
	s_delay_alu instid0(SALU_CYCLE_1)
	s_and_b32 vcc_lo, exec_lo, s45
	s_cbranch_vccnz .LBB30_73
	s_branch .LBB30_78
.LBB30_72:                              ;   in Loop: Header=BB30_4 Depth=1
	s_mov_b32 s7, 0
                                        ; implicit-def: $vgpr2_vgpr3
                                        ; implicit-def: $vgpr4_vgpr5
	s_cbranch_execz .LBB30_78
.LBB30_73:                              ;   in Loop: Header=BB30_4 Depth=1
                                        ; implicit-def: $vgpr2_vgpr3
                                        ; implicit-def: $vgpr4_vgpr5
	s_and_saveexec_b32 s45, s1
	s_cbranch_execz .LBB30_77
; %bb.74:                               ;   in Loop: Header=BB30_4 Depth=1
	v_mov_b64_e32 v[6:7], 0
	v_mov_b64_e32 v[2:3], 0
	v_dual_mov_b32 v4, v47 :: v_dual_mov_b32 v5, v46
	s_mov_b32 s47, -1
	s_mov_b32 s46, 0
.LBB30_75:                              ;   Parent Loop BB30_4 Depth=1
                                        ; =>  This Inner Loop Header: Depth=2
	ds_load_b128 v[50:53], v4
	ds_load_b128 v[54:57], v5
	s_add_co_i32 s47, s47, 1
	v_add_nc_u32_e32 v5, 16, v5
	v_cmp_ge_u32_e32 vcc_lo, s47, v18
	v_add_nc_u32_e32 v4, s20, v4
	s_or_b32 s46, vcc_lo, s46
	s_wait_dscnt 0x0
	v_mul_f64_e32 v[58:59], v[50:51], v[54:55]
	v_mul_f64_e32 v[50:51], v[50:51], v[56:57]
	s_delay_alu instid0(VALU_DEP_2) | instskip(NEXT) | instid1(VALU_DEP_2)
	v_fma_f64 v[56:57], v[52:53], v[56:57], -v[58:59]
	v_fma_f64 v[50:51], v[54:55], -v[52:53], -v[50:51]
	s_delay_alu instid0(VALU_DEP_2) | instskip(NEXT) | instid1(VALU_DEP_2)
	v_add_f64_e32 v[6:7], v[6:7], v[56:57]
	v_add_f64_e32 v[2:3], v[2:3], v[50:51]
	s_and_not1_b32 exec_lo, exec_lo, s46
	s_cbranch_execnz .LBB30_75
; %bb.76:                               ;   in Loop: Header=BB30_4 Depth=1
	s_or_b32 exec_lo, exec_lo, s46
	v_lshl_add_u64 v[4:5], v[20:21], 4, v[0:1]
	s_or_b32 s7, s7, exec_lo
	s_delay_alu instid0(VALU_DEP_1)
	v_add_nc_u64_e32 v[4:5], v[4:5], v[8:9]
	flat_store_b64 v[4:5], v[6:7]
.LBB30_77:                              ;   in Loop: Header=BB30_4 Depth=1
	s_wait_xcnt 0x0
	s_or_b32 exec_lo, exec_lo, s45
.LBB30_78:                              ;   in Loop: Header=BB30_4 Depth=1
	s_and_saveexec_b32 s45, s7
	s_cbranch_execz .LBB30_80
; %bb.79:                               ;   in Loop: Header=BB30_4 Depth=1
	flat_store_b64 v[4:5], v[2:3] offset:8
.LBB30_80:                              ;   in Loop: Header=BB30_4 Depth=1
	s_wait_xcnt 0x0
	s_or_b32 exec_lo, exec_lo, s45
	s_and_saveexec_b32 s7, s2
	s_cbranch_execz .LBB30_2
; %bb.81:                               ;   in Loop: Header=BB30_4 Depth=1
	s_and_b32 vcc_lo, exec_lo, s42
	s_mov_b32 s45, -1
	s_cbranch_vccz .LBB30_86
; %bb.82:                               ;   in Loop: Header=BB30_4 Depth=1
	s_and_saveexec_b32 s45, s4
	s_cbranch_execz .LBB30_85
; %bb.83:                               ;   in Loop: Header=BB30_4 Depth=1
	v_add_nc_u64_e32 v[2:3], v[32:33], v[28:29]
	v_mov_b32_e32 v4, v39
	s_mov_b32 s46, 0
	s_mov_b32 s47, s18
.LBB30_84:                              ;   Parent Loop BB30_4 Depth=1
                                        ; =>  This Inner Loop Header: Depth=2
	ds_load_2addr_b64 v[50:53], v4 offset1:1
	s_add_co_i32 s47, s47, -1
	v_add_nc_u32_e32 v4, s20, v4
	v_cmp_le_i32_e32 vcc_lo, s47, v10
	s_or_b32 s46, vcc_lo, s46
	s_wait_dscnt 0x0
	flat_store_b128 v[2:3], v[50:53]
	s_wait_xcnt 0x0
	v_add_nc_u64_e32 v[2:3], s[38:39], v[2:3]
	s_and_not1_b32 exec_lo, exec_lo, s46
	s_cbranch_execnz .LBB30_84
.LBB30_85:                              ;   in Loop: Header=BB30_4 Depth=1
	s_or_b32 exec_lo, exec_lo, s45
	s_mov_b32 s45, 0
.LBB30_86:                              ;   in Loop: Header=BB30_4 Depth=1
	s_delay_alu instid0(SALU_CYCLE_1)
	s_and_not1_b32 vcc_lo, exec_lo, s45
	s_cbranch_vccnz .LBB30_2
; %bb.87:                               ;   in Loop: Header=BB30_4 Depth=1
	s_and_b32 exec_lo, exec_lo, s5
	s_cbranch_execz .LBB30_2
; %bb.88:                               ;   in Loop: Header=BB30_4 Depth=1
	v_lshl_add_u64 v[0:1], v[14:15], 4, v[0:1]
	v_dual_mov_b32 v2, v34 :: v_dual_mov_b32 v3, v48
	s_mov_b32 s45, 0
	s_delay_alu instid0(VALU_DEP_2)
	v_lshl_add_u64 v[0:1], v[10:11], 4, v[0:1]
.LBB30_89:                              ;   Parent Loop BB30_4 Depth=1
                                        ; =>  This Inner Loop Header: Depth=2
	ds_load_2addr_b64 v[4:7], v2 offset1:1
	v_dual_add_nc_u32 v3, -1, v3 :: v_dual_add_nc_u32 v2, s20, v2
	s_delay_alu instid0(VALU_DEP_1)
	v_cmp_eq_u32_e32 vcc_lo, 0, v3
	s_or_b32 s45, vcc_lo, s45
	s_wait_dscnt 0x0
	flat_store_b128 v[0:1], v[4:7]
	s_wait_xcnt 0x0
	v_add_nc_u64_e32 v[0:1], s[36:37], v[0:1]
	s_and_not1_b32 exec_lo, exec_lo, s45
	s_cbranch_execnz .LBB30_89
	s_branch .LBB30_2
.LBB30_90:
	s_endpgm
	.section	.rodata,"a",@progbits
	.p2align	6, 0x0
	.amdhsa_kernel _ZL29rocblas_trtri_diagonal_kernelILi16E19rocblas_complex_numIdEPKPKS1_PKPS1_Ev13rocblas_fill_17rocblas_diagonal_iT1_lillT2_lilli
		.amdhsa_group_segment_fixed_size 16384
		.amdhsa_private_segment_fixed_size 0
		.amdhsa_kernarg_size 100
		.amdhsa_user_sgpr_count 2
		.amdhsa_user_sgpr_dispatch_ptr 0
		.amdhsa_user_sgpr_queue_ptr 0
		.amdhsa_user_sgpr_kernarg_segment_ptr 1
		.amdhsa_user_sgpr_dispatch_id 0
		.amdhsa_user_sgpr_kernarg_preload_length 0
		.amdhsa_user_sgpr_kernarg_preload_offset 0
		.amdhsa_user_sgpr_private_segment_size 0
		.amdhsa_wavefront_size32 1
		.amdhsa_uses_dynamic_stack 0
		.amdhsa_enable_private_segment 0
		.amdhsa_system_sgpr_workgroup_id_x 1
		.amdhsa_system_sgpr_workgroup_id_y 0
		.amdhsa_system_sgpr_workgroup_id_z 1
		.amdhsa_system_sgpr_workgroup_info 0
		.amdhsa_system_vgpr_workitem_id 0
		.amdhsa_next_free_vgpr 60
		.amdhsa_next_free_sgpr 50
		.amdhsa_named_barrier_count 0
		.amdhsa_reserve_vcc 1
		.amdhsa_float_round_mode_32 0
		.amdhsa_float_round_mode_16_64 0
		.amdhsa_float_denorm_mode_32 3
		.amdhsa_float_denorm_mode_16_64 3
		.amdhsa_fp16_overflow 0
		.amdhsa_memory_ordered 1
		.amdhsa_forward_progress 1
		.amdhsa_inst_pref_size 29
		.amdhsa_round_robin_scheduling 0
		.amdhsa_exception_fp_ieee_invalid_op 0
		.amdhsa_exception_fp_denorm_src 0
		.amdhsa_exception_fp_ieee_div_zero 0
		.amdhsa_exception_fp_ieee_overflow 0
		.amdhsa_exception_fp_ieee_underflow 0
		.amdhsa_exception_fp_ieee_inexact 0
		.amdhsa_exception_int_div_zero 0
	.end_amdhsa_kernel
	.section	.text._ZL29rocblas_trtri_diagonal_kernelILi16E19rocblas_complex_numIdEPKPKS1_PKPS1_Ev13rocblas_fill_17rocblas_diagonal_iT1_lillT2_lilli,"axG",@progbits,_ZL29rocblas_trtri_diagonal_kernelILi16E19rocblas_complex_numIdEPKPKS1_PKPS1_Ev13rocblas_fill_17rocblas_diagonal_iT1_lillT2_lilli,comdat
.Lfunc_end30:
	.size	_ZL29rocblas_trtri_diagonal_kernelILi16E19rocblas_complex_numIdEPKPKS1_PKPS1_Ev13rocblas_fill_17rocblas_diagonal_iT1_lillT2_lilli, .Lfunc_end30-_ZL29rocblas_trtri_diagonal_kernelILi16E19rocblas_complex_numIdEPKPKS1_PKPS1_Ev13rocblas_fill_17rocblas_diagonal_iT1_lillT2_lilli
                                        ; -- End function
	.set _ZL29rocblas_trtri_diagonal_kernelILi16E19rocblas_complex_numIdEPKPKS1_PKPS1_Ev13rocblas_fill_17rocblas_diagonal_iT1_lillT2_lilli.num_vgpr, 60
	.set _ZL29rocblas_trtri_diagonal_kernelILi16E19rocblas_complex_numIdEPKPKS1_PKPS1_Ev13rocblas_fill_17rocblas_diagonal_iT1_lillT2_lilli.num_agpr, 0
	.set _ZL29rocblas_trtri_diagonal_kernelILi16E19rocblas_complex_numIdEPKPKS1_PKPS1_Ev13rocblas_fill_17rocblas_diagonal_iT1_lillT2_lilli.numbered_sgpr, 50
	.set _ZL29rocblas_trtri_diagonal_kernelILi16E19rocblas_complex_numIdEPKPKS1_PKPS1_Ev13rocblas_fill_17rocblas_diagonal_iT1_lillT2_lilli.num_named_barrier, 0
	.set _ZL29rocblas_trtri_diagonal_kernelILi16E19rocblas_complex_numIdEPKPKS1_PKPS1_Ev13rocblas_fill_17rocblas_diagonal_iT1_lillT2_lilli.private_seg_size, 0
	.set _ZL29rocblas_trtri_diagonal_kernelILi16E19rocblas_complex_numIdEPKPKS1_PKPS1_Ev13rocblas_fill_17rocblas_diagonal_iT1_lillT2_lilli.uses_vcc, 1
	.set _ZL29rocblas_trtri_diagonal_kernelILi16E19rocblas_complex_numIdEPKPKS1_PKPS1_Ev13rocblas_fill_17rocblas_diagonal_iT1_lillT2_lilli.uses_flat_scratch, 0
	.set _ZL29rocblas_trtri_diagonal_kernelILi16E19rocblas_complex_numIdEPKPKS1_PKPS1_Ev13rocblas_fill_17rocblas_diagonal_iT1_lillT2_lilli.has_dyn_sized_stack, 0
	.set _ZL29rocblas_trtri_diagonal_kernelILi16E19rocblas_complex_numIdEPKPKS1_PKPS1_Ev13rocblas_fill_17rocblas_diagonal_iT1_lillT2_lilli.has_recursion, 0
	.set _ZL29rocblas_trtri_diagonal_kernelILi16E19rocblas_complex_numIdEPKPKS1_PKPS1_Ev13rocblas_fill_17rocblas_diagonal_iT1_lillT2_lilli.has_indirect_call, 0
	.section	.AMDGPU.csdata,"",@progbits
; Kernel info:
; codeLenInByte = 3668
; TotalNumSgprs: 52
; NumVgprs: 60
; ScratchSize: 0
; MemoryBound: 1
; FloatMode: 240
; IeeeMode: 1
; LDSByteSize: 16384 bytes/workgroup (compile time only)
; SGPRBlocks: 0
; VGPRBlocks: 3
; NumSGPRsForWavesPerEU: 52
; NumVGPRsForWavesPerEU: 60
; NamedBarCnt: 0
; Occupancy: 16
; WaveLimiterHint : 1
; COMPUTE_PGM_RSRC2:SCRATCH_EN: 0
; COMPUTE_PGM_RSRC2:USER_SGPR: 2
; COMPUTE_PGM_RSRC2:TRAP_HANDLER: 0
; COMPUTE_PGM_RSRC2:TGID_X_EN: 1
; COMPUTE_PGM_RSRC2:TGID_Y_EN: 0
; COMPUTE_PGM_RSRC2:TGID_Z_EN: 1
; COMPUTE_PGM_RSRC2:TIDIG_COMP_CNT: 0
	.section	.text._ZL30rocblas_trtri_remainder_kernelILi16E19rocblas_complex_numIdEPKPKS1_PKPS1_Ev13rocblas_fill_17rocblas_diagonal_iT1_lillT2_lilli,"axG",@progbits,_ZL30rocblas_trtri_remainder_kernelILi16E19rocblas_complex_numIdEPKPKS1_PKPS1_Ev13rocblas_fill_17rocblas_diagonal_iT1_lillT2_lilli,comdat
	.globl	_ZL30rocblas_trtri_remainder_kernelILi16E19rocblas_complex_numIdEPKPKS1_PKPS1_Ev13rocblas_fill_17rocblas_diagonal_iT1_lillT2_lilli ; -- Begin function _ZL30rocblas_trtri_remainder_kernelILi16E19rocblas_complex_numIdEPKPKS1_PKPS1_Ev13rocblas_fill_17rocblas_diagonal_iT1_lillT2_lilli
	.p2align	8
	.type	_ZL30rocblas_trtri_remainder_kernelILi16E19rocblas_complex_numIdEPKPKS1_PKPS1_Ev13rocblas_fill_17rocblas_diagonal_iT1_lillT2_lilli,@function
_ZL30rocblas_trtri_remainder_kernelILi16E19rocblas_complex_numIdEPKPKS1_PKPS1_Ev13rocblas_fill_17rocblas_diagonal_iT1_lillT2_lilli: ; @_ZL30rocblas_trtri_remainder_kernelILi16E19rocblas_complex_numIdEPKPKS1_PKPS1_Ev13rocblas_fill_17rocblas_diagonal_iT1_lillT2_lilli
; %bb.0:
	s_load_b32 s15, s[0:1], 0x60
	s_bfe_u32 s2, ttmp6, 0x40014
	s_lshr_b32 s3, ttmp7, 16
	s_add_co_i32 s2, s2, 1
	s_bfe_u32 s4, ttmp6, 0x40008
	s_mul_i32 s2, s3, s2
	s_getreg_b32 s19, hwreg(HW_REG_IB_STS2, 6, 4)
	s_add_co_i32 s4, s4, s2
	s_cmp_eq_u32 s19, 0
	s_cselect_b32 s2, s3, s4
	s_mov_b32 s3, 0
	s_wait_kmcnt 0x0
	s_cmp_ge_u32 s2, s15
	s_cbranch_scc1 .LBB31_43
; %bb.1:
	s_clause 0x5
	s_load_b32 s20, s[0:1], 0x20
	s_load_b96 s[16:18], s[0:1], 0x40
	s_load_b96 s[12:14], s[0:1], 0x0
	s_load_b128 s[4:7], s[0:1], 0x30
	s_load_b128 s[8:11], s[0:1], 0x10
	s_load_b64 s[22:23], s[0:1], 0x58
	s_wait_xcnt 0x0
	s_bfe_u32 s1, ttmp6, 0x4000c
	s_and_b32 s0, ttmp6, 15
	s_add_co_i32 s1, s1, 1
	s_mov_b32 s25, s3
	s_mul_i32 s1, ttmp9, s1
	s_mov_b32 s31, s3
	s_add_co_i32 s1, s0, s1
	v_dual_lshlrev_b32 v10, 4, v0 :: v_dual_add_nc_u32 v21, 1, v0
	v_lshlrev_b32_e32 v12, 4, v0
	s_wait_kmcnt 0x0
	s_ashr_i32 s21, s20, 31
	s_ashr_i32 s35, s18, 31
	s_cmp_eq_u32 s19, 0
	s_mov_b32 s34, s18
	s_cselect_b32 s24, ttmp9, s1
	s_cmp_gt_i32 s14, 0
	s_mul_u64 s[4:5], s[4:5], s[24:25]
	s_cselect_b32 s26, -1, 0
	s_cmp_lg_u32 s12, 0x7a
	v_mul_lo_u32 v2, v0, s14
	s_cselect_b32 s27, -1, 0
	s_add_co_i32 s30, s14, -1
	s_delay_alu instid0(SALU_CYCLE_1)
	v_dual_mov_b32 v11, 0 :: v_dual_sub_nc_u32 v1, s30, v0
	s_cmp_lg_u32 s13, 0x84
	s_mul_u64 s[12:13], s[20:21], s[30:31]
	s_cselect_b32 s28, -1, 0
	s_lshl_b64 s[4:5], s[4:5], 4
	s_lshl_b64 s[12:13], s[12:13], 4
	v_dual_lshlrev_b32 v1, 4, v1 :: v_dual_mov_b32 v13, v11
	s_add_nc_u64 s[12:13], s[4:5], s[12:13]
	s_lshl_b64 s[10:11], s[10:11], 4
	s_mul_u64 s[18:19], s[22:23], s[24:25]
	s_add_nc_u64 s[12:13], s[12:13], s[10:11]
	s_lshl_b64 s[18:19], s[18:19], 4
	v_add_nc_u64_e32 v[14:15], s[12:13], v[12:13]
	s_lshl_b64 s[12:13], s[20:21], 4
	s_mul_u64 s[20:21], s[34:35], s[30:31]
	s_lshl_b64 s[16:17], s[16:17], 4
	s_lshl_b64 s[22:23], s[20:21], 4
	s_lshl_b32 s29, s14, 4
	s_add_nc_u64 s[22:23], s[18:19], s[22:23]
	v_cmp_gt_u32_e64 s0, s14, v0
	s_add_nc_u64 s[22:23], s[22:23], s[16:17]
	v_add_lshl_u32 v20, v2, v0, 4
	v_add_nc_u64_e32 v[16:17], s[22:23], v[12:13]
	v_add_nc_u32_e32 v22, s29, v12
	s_lshl_b64 s[22:23], s[34:35], 4
	s_sub_nc_u64 s[20:21], 0, s[12:13]
	s_add_co_i32 s30, s29, 16
	s_sub_nc_u64 s[24:25], 0, s[22:23]
	s_branch .LBB31_4
.LBB31_2:                               ;   in Loop: Header=BB31_4 Depth=1
	s_or_b32 exec_lo, exec_lo, s1
.LBB31_3:                               ;   in Loop: Header=BB31_4 Depth=1
	s_add_co_i32 s2, s2, 0x10000
	s_delay_alu instid0(SALU_CYCLE_1)
	s_cmp_lt_u32 s2, s15
	s_cbranch_scc0 .LBB31_43
.LBB31_4:                               ; =>This Loop Header: Depth=1
                                        ;     Child Loop BB31_8 Depth 2
                                        ;     Child Loop BB31_12 Depth 2
	;; [unrolled: 1-line block ×3, first 2 shown]
                                        ;       Child Loop BB31_31 Depth 3
                                        ;     Child Loop BB31_38 Depth 2
                                        ;     Child Loop BB31_42 Depth 2
	s_and_not1_b32 vcc_lo, exec_lo, s26
	s_cbranch_vccnz .LBB31_3
; %bb.5:                                ;   in Loop: Header=BB31_4 Depth=1
	v_mov_b32_e32 v2, s2
	global_load_b64 v[18:19], v2, s[6:7] scale_offset
	s_wait_xcnt 0x0
	s_and_saveexec_b32 s1, s0
	s_cbranch_execz .LBB31_13
; %bb.6:                                ;   in Loop: Header=BB31_4 Depth=1
	s_lshl_b64 s[34:35], s[2:3], 3
	s_and_not1_b32 vcc_lo, exec_lo, s27
	s_add_nc_u64 s[34:35], s[8:9], s[34:35]
	s_mov_b32 s31, -1
	global_load_b64 v[2:3], v11, s[34:35]
	s_cbranch_vccnz .LBB31_10
; %bb.7:                                ;   in Loop: Header=BB31_4 Depth=1
	s_wait_loadcnt 0x0
	v_add_nc_u64_e32 v[4:5], v[2:3], v[14:15]
	v_mov_b32_e32 v6, v1
	s_mov_b32 s31, 0
	s_mov_b32 s33, s14
.LBB31_8:                               ;   Parent Loop BB31_4 Depth=1
                                        ; =>  This Inner Loop Header: Depth=2
	flat_load_b128 v[24:27], v[4:5]
	s_add_co_i32 s33, s33, -1
	s_wait_xcnt 0x0
	v_add_nc_u64_e32 v[4:5], s[20:21], v[4:5]
	v_cmp_le_u32_e32 vcc_lo, s33, v0
	s_or_b32 s31, vcc_lo, s31
	s_wait_loadcnt_dscnt 0x0
	ds_store_2addr_b64 v6, v[24:25], v[26:27] offset1:1
	v_add_nc_u32_e32 v6, s29, v6
	s_and_not1_b32 exec_lo, exec_lo, s31
	s_cbranch_execnz .LBB31_8
; %bb.9:                                ;   in Loop: Header=BB31_4 Depth=1
	s_or_b32 exec_lo, exec_lo, s31
	s_mov_b32 s31, 0
.LBB31_10:                              ;   in Loop: Header=BB31_4 Depth=1
	s_delay_alu instid0(SALU_CYCLE_1)
	s_and_b32 vcc_lo, exec_lo, s31
	s_cbranch_vccz .LBB31_13
; %bb.11:                               ;   in Loop: Header=BB31_4 Depth=1
	s_wait_loadcnt 0x0
	v_add_nc_u64_e32 v[2:3], s[10:11], v[2:3]
	v_dual_mov_b32 v4, v12 :: v_dual_mov_b32 v5, v21
	s_mov_b32 s31, 0
	s_delay_alu instid0(VALU_DEP_2) | instskip(NEXT) | instid1(VALU_DEP_1)
	v_add_nc_u64_e32 v[2:3], s[4:5], v[2:3]
	v_add_nc_u64_e32 v[2:3], v[2:3], v[10:11]
.LBB31_12:                              ;   Parent Loop BB31_4 Depth=1
                                        ; =>  This Inner Loop Header: Depth=2
	flat_load_b128 v[6:9], v[2:3]
	v_add_nc_u32_e32 v5, -1, v5
	s_wait_xcnt 0x0
	v_add_nc_u64_e32 v[2:3], s[12:13], v[2:3]
	s_wait_loadcnt_dscnt 0x0
	ds_store_2addr_b64 v4, v[6:7], v[8:9] offset1:1
	v_add_nc_u32_e32 v4, s29, v4
	v_cmp_eq_u32_e32 vcc_lo, 0, v5
	s_or_b32 s31, vcc_lo, s31
	s_delay_alu instid0(SALU_CYCLE_1)
	s_and_not1_b32 exec_lo, exec_lo, s31
	s_cbranch_execnz .LBB31_12
.LBB31_13:                              ;   in Loop: Header=BB31_4 Depth=1
	s_wait_xcnt 0x0
	s_or_b32 exec_lo, exec_lo, s1
	s_wait_loadcnt_dscnt 0x0
	s_barrier_signal -1
	s_barrier_wait -1
	s_and_saveexec_b32 s31, s0
	s_cbranch_execz .LBB31_24
; %bb.14:                               ;   in Loop: Header=BB31_4 Depth=1
	s_and_not1_b32 vcc_lo, exec_lo, s28
	s_cbranch_vccnz .LBB31_22
; %bb.15:                               ;   in Loop: Header=BB31_4 Depth=1
	ds_load_b128 v[2:5], v20
	v_mov_b64_e32 v[8:9], 0
	v_mov_b64_e32 v[6:7], 1.0
	s_wait_dscnt 0x0
	v_cmp_neq_f64_e32 vcc_lo, 0, v[2:3]
	v_cmp_neq_f64_e64 s1, 0, v[4:5]
	s_or_b32 s33, vcc_lo, s1
	s_delay_alu instid0(SALU_CYCLE_1)
	s_and_saveexec_b32 s1, s33
	s_cbranch_execz .LBB31_21
; %bb.16:                               ;   in Loop: Header=BB31_4 Depth=1
	v_cmp_ngt_f64_e64 s33, |v[2:3]|, |v[4:5]|
                                        ; implicit-def: $vgpr8_vgpr9
	s_and_saveexec_b32 s34, s33
	s_delay_alu instid0(SALU_CYCLE_1)
	s_xor_b32 s33, exec_lo, s34
	s_cbranch_execz .LBB31_18
; %bb.17:                               ;   in Loop: Header=BB31_4 Depth=1
	v_div_scale_f64 v[6:7], null, v[4:5], v[4:5], v[2:3]
	v_div_scale_f64 v[26:27], vcc_lo, v[2:3], v[4:5], v[2:3]
	s_delay_alu instid0(VALU_DEP_2) | instskip(SKIP_1) | instid1(TRANS32_DEP_1)
	v_rcp_f64_e32 v[8:9], v[6:7]
	v_nop
	v_fma_f64 v[24:25], -v[6:7], v[8:9], 1.0
	s_delay_alu instid0(VALU_DEP_1) | instskip(NEXT) | instid1(VALU_DEP_1)
	v_fmac_f64_e32 v[8:9], v[8:9], v[24:25]
	v_fma_f64 v[24:25], -v[6:7], v[8:9], 1.0
	s_delay_alu instid0(VALU_DEP_1) | instskip(NEXT) | instid1(VALU_DEP_1)
	v_fmac_f64_e32 v[8:9], v[8:9], v[24:25]
	v_mul_f64_e32 v[24:25], v[26:27], v[8:9]
	s_delay_alu instid0(VALU_DEP_1) | instskip(NEXT) | instid1(VALU_DEP_1)
	v_fma_f64 v[6:7], -v[6:7], v[24:25], v[26:27]
	v_div_fmas_f64 v[6:7], v[6:7], v[8:9], v[24:25]
	s_delay_alu instid0(VALU_DEP_1) | instskip(NEXT) | instid1(VALU_DEP_1)
	v_div_fixup_f64 v[6:7], v[6:7], v[4:5], v[2:3]
	v_fmac_f64_e32 v[4:5], v[2:3], v[6:7]
	s_delay_alu instid0(VALU_DEP_1) | instskip(NEXT) | instid1(VALU_DEP_1)
	v_div_scale_f64 v[2:3], null, v[4:5], v[4:5], 1.0
	v_rcp_f64_e32 v[8:9], v[2:3]
	v_nop
	s_delay_alu instid0(TRANS32_DEP_1) | instskip(NEXT) | instid1(VALU_DEP_1)
	v_fma_f64 v[24:25], -v[2:3], v[8:9], 1.0
	v_fmac_f64_e32 v[8:9], v[8:9], v[24:25]
	s_delay_alu instid0(VALU_DEP_1) | instskip(NEXT) | instid1(VALU_DEP_1)
	v_fma_f64 v[24:25], -v[2:3], v[8:9], 1.0
	v_fmac_f64_e32 v[8:9], v[8:9], v[24:25]
	v_div_scale_f64 v[24:25], vcc_lo, 1.0, v[4:5], 1.0
	s_delay_alu instid0(VALU_DEP_1) | instskip(NEXT) | instid1(VALU_DEP_1)
	v_mul_f64_e32 v[26:27], v[24:25], v[8:9]
	v_fma_f64 v[2:3], -v[2:3], v[26:27], v[24:25]
	s_delay_alu instid0(VALU_DEP_1) | instskip(NEXT) | instid1(VALU_DEP_1)
	v_div_fmas_f64 v[2:3], v[2:3], v[8:9], v[26:27]
	v_div_fixup_f64 v[8:9], v[2:3], v[4:5], 1.0
                                        ; implicit-def: $vgpr2_vgpr3
	s_delay_alu instid0(VALU_DEP_1)
	v_mul_f64_e32 v[6:7], v[6:7], v[8:9]
	v_xor_b32_e32 v9, 0x80000000, v9
.LBB31_18:                              ;   in Loop: Header=BB31_4 Depth=1
	s_and_not1_saveexec_b32 s33, s33
	s_cbranch_execz .LBB31_20
; %bb.19:                               ;   in Loop: Header=BB31_4 Depth=1
	v_div_scale_f64 v[6:7], null, v[2:3], v[2:3], v[4:5]
	v_div_scale_f64 v[26:27], vcc_lo, v[4:5], v[2:3], v[4:5]
	s_delay_alu instid0(VALU_DEP_2) | instskip(SKIP_1) | instid1(TRANS32_DEP_1)
	v_rcp_f64_e32 v[8:9], v[6:7]
	v_nop
	v_fma_f64 v[24:25], -v[6:7], v[8:9], 1.0
	s_delay_alu instid0(VALU_DEP_1) | instskip(NEXT) | instid1(VALU_DEP_1)
	v_fmac_f64_e32 v[8:9], v[8:9], v[24:25]
	v_fma_f64 v[24:25], -v[6:7], v[8:9], 1.0
	s_delay_alu instid0(VALU_DEP_1) | instskip(NEXT) | instid1(VALU_DEP_1)
	v_fmac_f64_e32 v[8:9], v[8:9], v[24:25]
	v_mul_f64_e32 v[24:25], v[26:27], v[8:9]
	s_delay_alu instid0(VALU_DEP_1) | instskip(NEXT) | instid1(VALU_DEP_1)
	v_fma_f64 v[6:7], -v[6:7], v[24:25], v[26:27]
	v_div_fmas_f64 v[6:7], v[6:7], v[8:9], v[24:25]
	s_delay_alu instid0(VALU_DEP_1) | instskip(NEXT) | instid1(VALU_DEP_1)
	v_div_fixup_f64 v[8:9], v[6:7], v[2:3], v[4:5]
	v_fmac_f64_e32 v[2:3], v[4:5], v[8:9]
	s_delay_alu instid0(VALU_DEP_1) | instskip(NEXT) | instid1(VALU_DEP_1)
	v_div_scale_f64 v[4:5], null, v[2:3], v[2:3], 1.0
	v_rcp_f64_e32 v[6:7], v[4:5]
	v_nop
	s_delay_alu instid0(TRANS32_DEP_1) | instskip(NEXT) | instid1(VALU_DEP_1)
	v_fma_f64 v[24:25], -v[4:5], v[6:7], 1.0
	v_fmac_f64_e32 v[6:7], v[6:7], v[24:25]
	s_delay_alu instid0(VALU_DEP_1) | instskip(NEXT) | instid1(VALU_DEP_1)
	v_fma_f64 v[24:25], -v[4:5], v[6:7], 1.0
	v_fmac_f64_e32 v[6:7], v[6:7], v[24:25]
	v_div_scale_f64 v[24:25], vcc_lo, 1.0, v[2:3], 1.0
	s_delay_alu instid0(VALU_DEP_1) | instskip(NEXT) | instid1(VALU_DEP_1)
	v_mul_f64_e32 v[26:27], v[24:25], v[6:7]
	v_fma_f64 v[4:5], -v[4:5], v[26:27], v[24:25]
	s_delay_alu instid0(VALU_DEP_1) | instskip(NEXT) | instid1(VALU_DEP_1)
	v_div_fmas_f64 v[4:5], v[4:5], v[6:7], v[26:27]
	v_div_fixup_f64 v[6:7], v[4:5], v[2:3], 1.0
	s_delay_alu instid0(VALU_DEP_1)
	v_mul_f64_e64 v[8:9], v[8:9], -v[6:7]
.LBB31_20:                              ;   in Loop: Header=BB31_4 Depth=1
	s_or_b32 exec_lo, exec_lo, s33
.LBB31_21:                              ;   in Loop: Header=BB31_4 Depth=1
	s_delay_alu instid0(SALU_CYCLE_1)
	s_or_b32 exec_lo, exec_lo, s1
	s_branch .LBB31_23
.LBB31_22:                              ;   in Loop: Header=BB31_4 Depth=1
	v_mov_b64_e32 v[8:9], 0
	v_mov_b64_e32 v[6:7], 1.0
.LBB31_23:                              ;   in Loop: Header=BB31_4 Depth=1
	ds_store_b128 v20, v[6:9]
.LBB31_24:                              ;   in Loop: Header=BB31_4 Depth=1
	s_or_b32 exec_lo, exec_lo, s31
	v_mov_b32_e32 v6, v22
	s_mov_b32 s1, 0
	s_mov_b32 s31, 16
	s_wait_dscnt 0x0
	s_barrier_signal -1
	s_barrier_wait -1
	s_branch .LBB31_26
.LBB31_25:                              ;   in Loop: Header=BB31_26 Depth=2
	v_add_nc_u32_e32 v6, s29, v6
	s_add_co_i32 s31, s31, s30
	s_cmp_eq_u32 s1, s14
	s_barrier_signal -1
	s_barrier_wait -1
	s_cbranch_scc1 .LBB31_35
.LBB31_26:                              ;   Parent Loop BB31_4 Depth=1
                                        ; =>  This Loop Header: Depth=2
                                        ;       Child Loop BB31_31 Depth 3
	v_mov_b64_e32 v[2:3], 0
	v_mov_b64_e32 v[4:5], 0
	s_mul_i32 s33, s1, s14
	s_mov_b32 s34, exec_lo
	v_cmpx_lt_u32_e64 s1, v0
	s_cbranch_execz .LBB31_28
; %bb.27:                               ;   in Loop: Header=BB31_26 Depth=2
	s_lshl_b32 s35, s33, 4
	s_lshl_b32 s36, s1, 4
	v_add_nc_u32_e32 v7, s35, v12
	s_add_co_i32 s36, s36, s35
	s_delay_alu instid0(SALU_CYCLE_1)
	v_mov_b32_e32 v2, s36
	ds_load_b128 v[2:5], v2
	ds_load_b128 v[24:27], v7
	s_wait_dscnt 0x0
	v_mul_f64_e32 v[8:9], v[4:5], v[26:27]
	v_mul_f64_e32 v[26:27], v[2:3], v[26:27]
	s_delay_alu instid0(VALU_DEP_2) | instskip(NEXT) | instid1(VALU_DEP_2)
	v_fma_f64 v[2:3], v[2:3], v[24:25], -v[8:9]
	v_fmac_f64_e32 v[26:27], v[4:5], v[24:25]
	s_delay_alu instid0(VALU_DEP_2) | instskip(NEXT) | instid1(VALU_DEP_2)
	v_add_f64_e32 v[2:3], 0, v[2:3]
	v_add_f64_e32 v[4:5], 0, v[26:27]
.LBB31_28:                              ;   in Loop: Header=BB31_26 Depth=2
	s_or_b32 exec_lo, exec_lo, s34
	s_add_co_i32 s1, s1, 1
	s_delay_alu instid0(SALU_CYCLE_1)
	s_cmp_ge_i32 s1, s14
	s_barrier_signal -1
	s_barrier_wait -1
	s_cbranch_scc1 .LBB31_25
; %bb.29:                               ;   in Loop: Header=BB31_26 Depth=2
	v_lshl_add_u32 v7, s33, 4, v12
	v_mov_b32_e32 v8, v6
	s_mov_b32 s33, s31
	s_mov_b32 s34, s1
	s_branch .LBB31_31
.LBB31_30:                              ;   in Loop: Header=BB31_31 Depth=3
	s_or_b32 exec_lo, exec_lo, s35
	v_add_nc_u32_e32 v8, s29, v8
	s_add_co_i32 s34, s34, 1
	s_add_co_i32 s33, s33, 16
	s_cmp_eq_u32 s14, s34
	s_barrier_signal -1
	s_barrier_wait -1
	s_cbranch_scc1 .LBB31_25
.LBB31_31:                              ;   Parent Loop BB31_4 Depth=1
                                        ;     Parent Loop BB31_26 Depth=2
                                        ; =>    This Inner Loop Header: Depth=3
	s_mov_b32 s35, exec_lo
	v_cmpx_eq_u32_e64 s34, v0
	s_cbranch_execz .LBB31_33
; %bb.32:                               ;   in Loop: Header=BB31_31 Depth=3
	ds_load_b128 v[24:27], v20
	v_add_f64_e64 v[30:31], -v[2:3], 0
	s_wait_dscnt 0x0
	v_mul_f64_e32 v[28:29], v[4:5], v[26:27]
	v_mul_f64_e32 v[32:33], v[4:5], v[24:25]
	s_delay_alu instid0(VALU_DEP_2) | instskip(NEXT) | instid1(VALU_DEP_2)
	v_fmac_f64_e32 v[28:29], v[30:31], v[24:25]
	v_fma_f64 v[30:31], v[30:31], v[26:27], -v[32:33]
	ds_store_b128 v7, v[28:31]
.LBB31_33:                              ;   in Loop: Header=BB31_31 Depth=3
	s_or_b32 exec_lo, exec_lo, s35
	s_delay_alu instid0(SALU_CYCLE_1)
	s_mov_b32 s35, exec_lo
	s_wait_dscnt 0x0
	s_barrier_signal -1
	s_barrier_wait -1
	v_cmpx_lt_u32_e64 s34, v0
	s_cbranch_execz .LBB31_30
; %bb.34:                               ;   in Loop: Header=BB31_31 Depth=3
	v_mov_b32_e32 v9, s33
	ds_load_b128 v[24:27], v8
	ds_load_b128 v[28:31], v9
	s_wait_dscnt 0x0
	v_mul_f64_e32 v[32:33], v[30:31], v[26:27]
	v_mul_f64_e32 v[26:27], v[28:29], v[26:27]
	s_delay_alu instid0(VALU_DEP_2) | instskip(NEXT) | instid1(VALU_DEP_2)
	v_fma_f64 v[28:29], v[28:29], v[24:25], -v[32:33]
	v_fmac_f64_e32 v[26:27], v[30:31], v[24:25]
	s_delay_alu instid0(VALU_DEP_2) | instskip(NEXT) | instid1(VALU_DEP_2)
	v_add_f64_e32 v[2:3], v[2:3], v[28:29]
	v_add_f64_e32 v[4:5], v[4:5], v[26:27]
	s_branch .LBB31_30
.LBB31_35:                              ;   in Loop: Header=BB31_4 Depth=1
	s_and_saveexec_b32 s1, s0
	s_cbranch_execz .LBB31_2
; %bb.36:                               ;   in Loop: Header=BB31_4 Depth=1
	s_and_not1_b32 vcc_lo, exec_lo, s27
	s_mov_b32 s31, -1
	s_cbranch_vccnz .LBB31_40
; %bb.37:                               ;   in Loop: Header=BB31_4 Depth=1
	v_add_nc_u64_e32 v[2:3], v[18:19], v[16:17]
	v_mov_b32_e32 v4, v1
	s_mov_b32 s31, 0
	s_mov_b32 s33, s14
.LBB31_38:                              ;   Parent Loop BB31_4 Depth=1
                                        ; =>  This Inner Loop Header: Depth=2
	ds_load_2addr_b64 v[6:9], v4 offset1:1
	s_add_co_i32 s33, s33, -1
	v_add_nc_u32_e32 v4, s29, v4
	v_cmp_le_u32_e32 vcc_lo, s33, v0
	s_or_b32 s31, vcc_lo, s31
	s_wait_dscnt 0x0
	flat_store_b128 v[2:3], v[6:9]
	s_wait_xcnt 0x0
	v_add_nc_u64_e32 v[2:3], s[24:25], v[2:3]
	s_and_not1_b32 exec_lo, exec_lo, s31
	s_cbranch_execnz .LBB31_38
; %bb.39:                               ;   in Loop: Header=BB31_4 Depth=1
	s_or_b32 exec_lo, exec_lo, s31
	s_mov_b32 s31, 0
.LBB31_40:                              ;   in Loop: Header=BB31_4 Depth=1
	s_delay_alu instid0(SALU_CYCLE_1)
	s_and_b32 vcc_lo, exec_lo, s31
	s_cbranch_vccz .LBB31_2
; %bb.41:                               ;   in Loop: Header=BB31_4 Depth=1
	v_add_nc_u64_e32 v[2:3], s[16:17], v[18:19]
	v_dual_mov_b32 v4, v12 :: v_dual_mov_b32 v5, v21
	s_mov_b32 s31, 0
	s_delay_alu instid0(VALU_DEP_2) | instskip(NEXT) | instid1(VALU_DEP_1)
	v_add_nc_u64_e32 v[2:3], s[18:19], v[2:3]
	v_add_nc_u64_e32 v[2:3], v[2:3], v[10:11]
.LBB31_42:                              ;   Parent Loop BB31_4 Depth=1
                                        ; =>  This Inner Loop Header: Depth=2
	ds_load_2addr_b64 v[6:9], v4 offset1:1
	v_dual_add_nc_u32 v5, -1, v5 :: v_dual_add_nc_u32 v4, s29, v4
	s_delay_alu instid0(VALU_DEP_1)
	v_cmp_eq_u32_e32 vcc_lo, 0, v5
	s_or_b32 s31, vcc_lo, s31
	s_wait_dscnt 0x0
	flat_store_b128 v[2:3], v[6:9]
	s_wait_xcnt 0x0
	v_add_nc_u64_e32 v[2:3], s[22:23], v[2:3]
	s_and_not1_b32 exec_lo, exec_lo, s31
	s_cbranch_execnz .LBB31_42
	s_branch .LBB31_2
.LBB31_43:
	s_endpgm
	.section	.rodata,"a",@progbits
	.p2align	6, 0x0
	.amdhsa_kernel _ZL30rocblas_trtri_remainder_kernelILi16E19rocblas_complex_numIdEPKPKS1_PKPS1_Ev13rocblas_fill_17rocblas_diagonal_iT1_lillT2_lilli
		.amdhsa_group_segment_fixed_size 16384
		.amdhsa_private_segment_fixed_size 0
		.amdhsa_kernarg_size 100
		.amdhsa_user_sgpr_count 2
		.amdhsa_user_sgpr_dispatch_ptr 0
		.amdhsa_user_sgpr_queue_ptr 0
		.amdhsa_user_sgpr_kernarg_segment_ptr 1
		.amdhsa_user_sgpr_dispatch_id 0
		.amdhsa_user_sgpr_kernarg_preload_length 0
		.amdhsa_user_sgpr_kernarg_preload_offset 0
		.amdhsa_user_sgpr_private_segment_size 0
		.amdhsa_wavefront_size32 1
		.amdhsa_uses_dynamic_stack 0
		.amdhsa_enable_private_segment 0
		.amdhsa_system_sgpr_workgroup_id_x 1
		.amdhsa_system_sgpr_workgroup_id_y 0
		.amdhsa_system_sgpr_workgroup_id_z 1
		.amdhsa_system_sgpr_workgroup_info 0
		.amdhsa_system_vgpr_workitem_id 0
		.amdhsa_next_free_vgpr 34
		.amdhsa_next_free_sgpr 37
		.amdhsa_named_barrier_count 0
		.amdhsa_reserve_vcc 1
		.amdhsa_float_round_mode_32 0
		.amdhsa_float_round_mode_16_64 0
		.amdhsa_float_denorm_mode_32 3
		.amdhsa_float_denorm_mode_16_64 3
		.amdhsa_fp16_overflow 0
		.amdhsa_memory_ordered 1
		.amdhsa_forward_progress 1
		.amdhsa_inst_pref_size 15
		.amdhsa_round_robin_scheduling 0
		.amdhsa_exception_fp_ieee_invalid_op 0
		.amdhsa_exception_fp_denorm_src 0
		.amdhsa_exception_fp_ieee_div_zero 0
		.amdhsa_exception_fp_ieee_overflow 0
		.amdhsa_exception_fp_ieee_underflow 0
		.amdhsa_exception_fp_ieee_inexact 0
		.amdhsa_exception_int_div_zero 0
	.end_amdhsa_kernel
	.section	.text._ZL30rocblas_trtri_remainder_kernelILi16E19rocblas_complex_numIdEPKPKS1_PKPS1_Ev13rocblas_fill_17rocblas_diagonal_iT1_lillT2_lilli,"axG",@progbits,_ZL30rocblas_trtri_remainder_kernelILi16E19rocblas_complex_numIdEPKPKS1_PKPS1_Ev13rocblas_fill_17rocblas_diagonal_iT1_lillT2_lilli,comdat
.Lfunc_end31:
	.size	_ZL30rocblas_trtri_remainder_kernelILi16E19rocblas_complex_numIdEPKPKS1_PKPS1_Ev13rocblas_fill_17rocblas_diagonal_iT1_lillT2_lilli, .Lfunc_end31-_ZL30rocblas_trtri_remainder_kernelILi16E19rocblas_complex_numIdEPKPKS1_PKPS1_Ev13rocblas_fill_17rocblas_diagonal_iT1_lillT2_lilli
                                        ; -- End function
	.set _ZL30rocblas_trtri_remainder_kernelILi16E19rocblas_complex_numIdEPKPKS1_PKPS1_Ev13rocblas_fill_17rocblas_diagonal_iT1_lillT2_lilli.num_vgpr, 34
	.set _ZL30rocblas_trtri_remainder_kernelILi16E19rocblas_complex_numIdEPKPKS1_PKPS1_Ev13rocblas_fill_17rocblas_diagonal_iT1_lillT2_lilli.num_agpr, 0
	.set _ZL30rocblas_trtri_remainder_kernelILi16E19rocblas_complex_numIdEPKPKS1_PKPS1_Ev13rocblas_fill_17rocblas_diagonal_iT1_lillT2_lilli.numbered_sgpr, 37
	.set _ZL30rocblas_trtri_remainder_kernelILi16E19rocblas_complex_numIdEPKPKS1_PKPS1_Ev13rocblas_fill_17rocblas_diagonal_iT1_lillT2_lilli.num_named_barrier, 0
	.set _ZL30rocblas_trtri_remainder_kernelILi16E19rocblas_complex_numIdEPKPKS1_PKPS1_Ev13rocblas_fill_17rocblas_diagonal_iT1_lillT2_lilli.private_seg_size, 0
	.set _ZL30rocblas_trtri_remainder_kernelILi16E19rocblas_complex_numIdEPKPKS1_PKPS1_Ev13rocblas_fill_17rocblas_diagonal_iT1_lillT2_lilli.uses_vcc, 1
	.set _ZL30rocblas_trtri_remainder_kernelILi16E19rocblas_complex_numIdEPKPKS1_PKPS1_Ev13rocblas_fill_17rocblas_diagonal_iT1_lillT2_lilli.uses_flat_scratch, 0
	.set _ZL30rocblas_trtri_remainder_kernelILi16E19rocblas_complex_numIdEPKPKS1_PKPS1_Ev13rocblas_fill_17rocblas_diagonal_iT1_lillT2_lilli.has_dyn_sized_stack, 0
	.set _ZL30rocblas_trtri_remainder_kernelILi16E19rocblas_complex_numIdEPKPKS1_PKPS1_Ev13rocblas_fill_17rocblas_diagonal_iT1_lillT2_lilli.has_recursion, 0
	.set _ZL30rocblas_trtri_remainder_kernelILi16E19rocblas_complex_numIdEPKPKS1_PKPS1_Ev13rocblas_fill_17rocblas_diagonal_iT1_lillT2_lilli.has_indirect_call, 0
	.section	.AMDGPU.csdata,"",@progbits
; Kernel info:
; codeLenInByte = 1856
; TotalNumSgprs: 39
; NumVgprs: 34
; ScratchSize: 0
; MemoryBound: 0
; FloatMode: 240
; IeeeMode: 1
; LDSByteSize: 16384 bytes/workgroup (compile time only)
; SGPRBlocks: 0
; VGPRBlocks: 2
; NumSGPRsForWavesPerEU: 39
; NumVGPRsForWavesPerEU: 34
; NamedBarCnt: 0
; Occupancy: 16
; WaveLimiterHint : 0
; COMPUTE_PGM_RSRC2:SCRATCH_EN: 0
; COMPUTE_PGM_RSRC2:USER_SGPR: 2
; COMPUTE_PGM_RSRC2:TRAP_HANDLER: 0
; COMPUTE_PGM_RSRC2:TGID_X_EN: 1
; COMPUTE_PGM_RSRC2:TGID_Y_EN: 0
; COMPUTE_PGM_RSRC2:TGID_Z_EN: 1
; COMPUTE_PGM_RSRC2:TIDIG_COMP_CNT: 0
	.section	.AMDGPU.gpr_maximums,"",@progbits
	.set amdgpu.max_num_vgpr, 0
	.set amdgpu.max_num_agpr, 0
	.set amdgpu.max_num_sgpr, 0
	.section	.AMDGPU.csdata,"",@progbits
	.type	__hip_cuid_95f2bcade52b2edd,@object ; @__hip_cuid_95f2bcade52b2edd
	.section	.bss,"aw",@nobits
	.globl	__hip_cuid_95f2bcade52b2edd
__hip_cuid_95f2bcade52b2edd:
	.byte	0                               ; 0x0
	.size	__hip_cuid_95f2bcade52b2edd, 1

	.ident	"AMD clang version 22.0.0git (https://github.com/RadeonOpenCompute/llvm-project roc-7.2.4 26084 f58b06dce1f9c15707c5f808fd002e18c2accf7e)"
	.section	".note.GNU-stack","",@progbits
	.addrsig
	.addrsig_sym __hip_cuid_95f2bcade52b2edd
	.amdgpu_metadata
---
amdhsa.kernels:
  - .args:
      - .address_space:  global
        .offset:         0
        .size:           8
        .value_kind:     global_buffer
      - .offset:         8
        .size:           4
        .value_kind:     by_value
      - .offset:         12
        .size:           4
        .value_kind:     by_value
      - .offset:         16
        .size:           8
        .value_kind:     by_value
      - .offset:         24
        .size:           4
        .value_kind:     by_value
      - .offset:         32
        .size:           8
        .value_kind:     by_value
      - .address_space:  global
        .offset:         40
        .size:           8
        .value_kind:     global_buffer
      - .offset:         48
        .size:           8
        .value_kind:     by_value
      - .offset:         56
        .size:           8
        .value_kind:     by_value
      - .offset:         64
        .size:           4
        .value_kind:     by_value
      - .offset:         68
        .size:           4
        .value_kind:     by_value
      - .offset:         72
        .size:           4
        .value_kind:     hidden_block_count_x
      - .offset:         76
        .size:           4
        .value_kind:     hidden_block_count_y
      - .offset:         80
        .size:           4
        .value_kind:     hidden_block_count_z
      - .offset:         84
        .size:           2
        .value_kind:     hidden_group_size_x
      - .offset:         86
        .size:           2
        .value_kind:     hidden_group_size_y
      - .offset:         88
        .size:           2
        .value_kind:     hidden_group_size_z
      - .offset:         90
        .size:           2
        .value_kind:     hidden_remainder_x
      - .offset:         92
        .size:           2
        .value_kind:     hidden_remainder_y
      - .offset:         94
        .size:           2
        .value_kind:     hidden_remainder_z
      - .offset:         112
        .size:           8
        .value_kind:     hidden_global_offset_x
      - .offset:         120
        .size:           8
        .value_kind:     hidden_global_offset_y
      - .offset:         128
        .size:           8
        .value_kind:     hidden_global_offset_z
      - .offset:         136
        .size:           2
        .value_kind:     hidden_grid_dims
    .group_segment_fixed_size: 0
    .kernarg_segment_align: 8
    .kernarg_segment_size: 328
    .language:       OpenCL C
    .language_version:
      - 2
      - 0
    .max_flat_workgroup_size: 128
    .name:           _ZL18rocblas_trtri_fillILi128EfPfEvP15_rocblas_handle13rocblas_fill_ililT1_llii
    .private_segment_fixed_size: 0
    .sgpr_count:     51
    .sgpr_spill_count: 0
    .symbol:         _ZL18rocblas_trtri_fillILi128EfPfEvP15_rocblas_handle13rocblas_fill_ililT1_llii.kd
    .uniform_work_group_size: 1
    .uses_dynamic_stack: false
    .vgpr_count:     24
    .vgpr_spill_count: 0
    .wavefront_size: 32
  - .args:
      - .offset:         0
        .size:           4
        .value_kind:     by_value
      - .offset:         4
        .size:           4
        .value_kind:     by_value
      - .offset:         8
        .size:           4
        .value_kind:     by_value
      - .address_space:  global
        .offset:         16
        .size:           8
        .value_kind:     global_buffer
      - .offset:         24
        .size:           8
        .value_kind:     by_value
      - .offset:         32
        .size:           4
        .value_kind:     by_value
      - .offset:         40
        .size:           8
        .value_kind:     by_value
      - .offset:         48
        .size:           8
        .value_kind:     by_value
      - .address_space:  global
        .offset:         56
        .size:           8
        .value_kind:     global_buffer
      - .offset:         64
        .size:           8
        .value_kind:     by_value
      - .offset:         72
        .size:           4
        .value_kind:     by_value
      - .offset:         80
        .size:           8
        .value_kind:     by_value
      - .offset:         88
        .size:           8
        .value_kind:     by_value
      - .offset:         96
        .size:           4
        .value_kind:     by_value
    .group_segment_fixed_size: 1024
    .kernarg_segment_align: 8
    .kernarg_segment_size: 100
    .language:       OpenCL C
    .language_version:
      - 2
      - 0
    .max_flat_workgroup_size: 16
    .name:           _ZL26rocblas_trtri_small_kernelILi16EfPKfPfEv13rocblas_fill_17rocblas_diagonal_iT1_lillT2_lilli
    .private_segment_fixed_size: 0
    .sgpr_count:     62
    .sgpr_spill_count: 0
    .symbol:         _ZL26rocblas_trtri_small_kernelILi16EfPKfPfEv13rocblas_fill_17rocblas_diagonal_iT1_lillT2_lilli.kd
    .uniform_work_group_size: 1
    .uses_dynamic_stack: false
    .vgpr_count:     27
    .vgpr_spill_count: 0
    .wavefront_size: 32
  - .args:
      - .offset:         0
        .size:           4
        .value_kind:     by_value
      - .offset:         4
        .size:           4
        .value_kind:     by_value
      - .offset:         8
        .size:           4
        .value_kind:     by_value
      - .address_space:  global
        .offset:         16
        .size:           8
        .value_kind:     global_buffer
      - .offset:         24
        .size:           8
        .value_kind:     by_value
      - .offset:         32
        .size:           4
        .value_kind:     by_value
      - .offset:         40
        .size:           8
        .value_kind:     by_value
      - .offset:         48
        .size:           8
        .value_kind:     by_value
      - .address_space:  global
        .offset:         56
        .size:           8
        .value_kind:     global_buffer
      - .offset:         64
        .size:           8
        .value_kind:     by_value
      - .offset:         72
        .size:           4
        .value_kind:     by_value
      - .offset:         80
        .size:           8
        .value_kind:     by_value
      - .offset:         88
        .size:           8
        .value_kind:     by_value
      - .offset:         96
        .size:           4
        .value_kind:     by_value
    .group_segment_fixed_size: 4096
    .kernarg_segment_align: 8
    .kernarg_segment_size: 100
    .language:       OpenCL C
    .language_version:
      - 2
      - 0
    .max_flat_workgroup_size: 256
    .name:           _ZL29rocblas_trtri_diagonal_kernelILi16EfPKfPfEv13rocblas_fill_17rocblas_diagonal_iT1_lillT2_lilli
    .private_segment_fixed_size: 0
    .sgpr_count:     88
    .sgpr_spill_count: 0
    .symbol:         _ZL29rocblas_trtri_diagonal_kernelILi16EfPKfPfEv13rocblas_fill_17rocblas_diagonal_iT1_lillT2_lilli.kd
    .uniform_work_group_size: 1
    .uses_dynamic_stack: false
    .vgpr_count:     56
    .vgpr_spill_count: 0
    .wavefront_size: 32
  - .args:
      - .offset:         0
        .size:           4
        .value_kind:     by_value
      - .offset:         4
        .size:           4
        .value_kind:     by_value
      - .offset:         8
        .size:           4
        .value_kind:     by_value
      - .address_space:  global
        .offset:         16
        .size:           8
        .value_kind:     global_buffer
      - .offset:         24
        .size:           8
        .value_kind:     by_value
      - .offset:         32
        .size:           4
        .value_kind:     by_value
      - .offset:         40
        .size:           8
        .value_kind:     by_value
      - .offset:         48
        .size:           8
        .value_kind:     by_value
      - .address_space:  global
        .offset:         56
        .size:           8
        .value_kind:     global_buffer
      - .offset:         64
        .size:           8
        .value_kind:     by_value
      - .offset:         72
        .size:           4
        .value_kind:     by_value
      - .offset:         80
        .size:           8
        .value_kind:     by_value
      - .offset:         88
        .size:           8
        .value_kind:     by_value
      - .offset:         96
        .size:           4
        .value_kind:     by_value
    .group_segment_fixed_size: 4096
    .kernarg_segment_align: 8
    .kernarg_segment_size: 100
    .language:       OpenCL C
    .language_version:
      - 2
      - 0
    .max_flat_workgroup_size: 1024
    .name:           _ZL30rocblas_trtri_remainder_kernelILi16EfPKfPfEv13rocblas_fill_17rocblas_diagonal_iT1_lillT2_lilli
    .private_segment_fixed_size: 0
    .sgpr_count:     62
    .sgpr_spill_count: 0
    .symbol:         _ZL30rocblas_trtri_remainder_kernelILi16EfPKfPfEv13rocblas_fill_17rocblas_diagonal_iT1_lillT2_lilli.kd
    .uniform_work_group_size: 1
    .uses_dynamic_stack: false
    .vgpr_count:     27
    .vgpr_spill_count: 0
    .wavefront_size: 32
  - .args:
      - .address_space:  global
        .offset:         0
        .size:           8
        .value_kind:     global_buffer
      - .offset:         8
        .size:           4
        .value_kind:     by_value
      - .offset:         12
        .size:           4
        .value_kind:     by_value
      - .offset:         16
        .size:           8
        .value_kind:     by_value
      - .offset:         24
        .size:           4
        .value_kind:     by_value
      - .offset:         32
        .size:           8
        .value_kind:     by_value
      - .address_space:  global
        .offset:         40
        .size:           8
        .value_kind:     global_buffer
      - .offset:         48
        .size:           8
        .value_kind:     by_value
      - .offset:         56
        .size:           8
        .value_kind:     by_value
      - .offset:         64
        .size:           4
        .value_kind:     by_value
      - .offset:         68
        .size:           4
        .value_kind:     by_value
      - .offset:         72
        .size:           4
        .value_kind:     hidden_block_count_x
      - .offset:         76
        .size:           4
        .value_kind:     hidden_block_count_y
      - .offset:         80
        .size:           4
        .value_kind:     hidden_block_count_z
      - .offset:         84
        .size:           2
        .value_kind:     hidden_group_size_x
      - .offset:         86
        .size:           2
        .value_kind:     hidden_group_size_y
      - .offset:         88
        .size:           2
        .value_kind:     hidden_group_size_z
      - .offset:         90
        .size:           2
        .value_kind:     hidden_remainder_x
      - .offset:         92
        .size:           2
        .value_kind:     hidden_remainder_y
      - .offset:         94
        .size:           2
        .value_kind:     hidden_remainder_z
      - .offset:         112
        .size:           8
        .value_kind:     hidden_global_offset_x
      - .offset:         120
        .size:           8
        .value_kind:     hidden_global_offset_y
      - .offset:         128
        .size:           8
        .value_kind:     hidden_global_offset_z
      - .offset:         136
        .size:           2
        .value_kind:     hidden_grid_dims
    .group_segment_fixed_size: 0
    .kernarg_segment_align: 8
    .kernarg_segment_size: 328
    .language:       OpenCL C
    .language_version:
      - 2
      - 0
    .max_flat_workgroup_size: 128
    .name:           _ZL18rocblas_trtri_fillILi128EdPdEvP15_rocblas_handle13rocblas_fill_ililT1_llii
    .private_segment_fixed_size: 0
    .sgpr_count:     51
    .sgpr_spill_count: 0
    .symbol:         _ZL18rocblas_trtri_fillILi128EdPdEvP15_rocblas_handle13rocblas_fill_ililT1_llii.kd
    .uniform_work_group_size: 1
    .uses_dynamic_stack: false
    .vgpr_count:     26
    .vgpr_spill_count: 0
    .wavefront_size: 32
  - .args:
      - .offset:         0
        .size:           4
        .value_kind:     by_value
      - .offset:         4
        .size:           4
        .value_kind:     by_value
      - .offset:         8
        .size:           4
        .value_kind:     by_value
      - .address_space:  global
        .offset:         16
        .size:           8
        .value_kind:     global_buffer
      - .offset:         24
        .size:           8
        .value_kind:     by_value
      - .offset:         32
        .size:           4
        .value_kind:     by_value
      - .offset:         40
        .size:           8
        .value_kind:     by_value
      - .offset:         48
        .size:           8
        .value_kind:     by_value
      - .address_space:  global
        .offset:         56
        .size:           8
        .value_kind:     global_buffer
      - .offset:         64
        .size:           8
        .value_kind:     by_value
      - .offset:         72
        .size:           4
        .value_kind:     by_value
      - .offset:         80
        .size:           8
        .value_kind:     by_value
      - .offset:         88
        .size:           8
        .value_kind:     by_value
      - .offset:         96
        .size:           4
        .value_kind:     by_value
    .group_segment_fixed_size: 2048
    .kernarg_segment_align: 8
    .kernarg_segment_size: 100
    .language:       OpenCL C
    .language_version:
      - 2
      - 0
    .max_flat_workgroup_size: 16
    .name:           _ZL26rocblas_trtri_small_kernelILi16EdPKdPdEv13rocblas_fill_17rocblas_diagonal_iT1_lillT2_lilli
    .private_segment_fixed_size: 0
    .sgpr_count:     40
    .sgpr_spill_count: 0
    .symbol:         _ZL26rocblas_trtri_small_kernelILi16EdPKdPdEv13rocblas_fill_17rocblas_diagonal_iT1_lillT2_lilli.kd
    .uniform_work_group_size: 1
    .uses_dynamic_stack: false
    .vgpr_count:     26
    .vgpr_spill_count: 0
    .wavefront_size: 32
  - .args:
      - .offset:         0
        .size:           4
        .value_kind:     by_value
      - .offset:         4
        .size:           4
        .value_kind:     by_value
      - .offset:         8
        .size:           4
        .value_kind:     by_value
      - .address_space:  global
        .offset:         16
        .size:           8
        .value_kind:     global_buffer
      - .offset:         24
        .size:           8
        .value_kind:     by_value
      - .offset:         32
        .size:           4
        .value_kind:     by_value
      - .offset:         40
        .size:           8
        .value_kind:     by_value
      - .offset:         48
        .size:           8
        .value_kind:     by_value
      - .address_space:  global
        .offset:         56
        .size:           8
        .value_kind:     global_buffer
      - .offset:         64
        .size:           8
        .value_kind:     by_value
      - .offset:         72
        .size:           4
        .value_kind:     by_value
      - .offset:         80
        .size:           8
        .value_kind:     by_value
      - .offset:         88
        .size:           8
        .value_kind:     by_value
      - .offset:         96
        .size:           4
        .value_kind:     by_value
    .group_segment_fixed_size: 8192
    .kernarg_segment_align: 8
    .kernarg_segment_size: 100
    .language:       OpenCL C
    .language_version:
      - 2
      - 0
    .max_flat_workgroup_size: 256
    .name:           _ZL29rocblas_trtri_diagonal_kernelILi16EdPKdPdEv13rocblas_fill_17rocblas_diagonal_iT1_lillT2_lilli
    .private_segment_fixed_size: 0
    .sgpr_count:     56
    .sgpr_spill_count: 0
    .symbol:         _ZL29rocblas_trtri_diagonal_kernelILi16EdPKdPdEv13rocblas_fill_17rocblas_diagonal_iT1_lillT2_lilli.kd
    .uniform_work_group_size: 1
    .uses_dynamic_stack: false
    .vgpr_count:     52
    .vgpr_spill_count: 0
    .wavefront_size: 32
  - .args:
      - .offset:         0
        .size:           4
        .value_kind:     by_value
      - .offset:         4
        .size:           4
        .value_kind:     by_value
      - .offset:         8
        .size:           4
        .value_kind:     by_value
      - .address_space:  global
        .offset:         16
        .size:           8
        .value_kind:     global_buffer
      - .offset:         24
        .size:           8
        .value_kind:     by_value
      - .offset:         32
        .size:           4
        .value_kind:     by_value
      - .offset:         40
        .size:           8
        .value_kind:     by_value
      - .offset:         48
        .size:           8
        .value_kind:     by_value
      - .address_space:  global
        .offset:         56
        .size:           8
        .value_kind:     global_buffer
      - .offset:         64
        .size:           8
        .value_kind:     by_value
      - .offset:         72
        .size:           4
        .value_kind:     by_value
      - .offset:         80
        .size:           8
        .value_kind:     by_value
      - .offset:         88
        .size:           8
        .value_kind:     by_value
      - .offset:         96
        .size:           4
        .value_kind:     by_value
    .group_segment_fixed_size: 8192
    .kernarg_segment_align: 8
    .kernarg_segment_size: 100
    .language:       OpenCL C
    .language_version:
      - 2
      - 0
    .max_flat_workgroup_size: 1024
    .name:           _ZL30rocblas_trtri_remainder_kernelILi16EdPKdPdEv13rocblas_fill_17rocblas_diagonal_iT1_lillT2_lilli
    .private_segment_fixed_size: 0
    .sgpr_count:     40
    .sgpr_spill_count: 0
    .symbol:         _ZL30rocblas_trtri_remainder_kernelILi16EdPKdPdEv13rocblas_fill_17rocblas_diagonal_iT1_lillT2_lilli.kd
    .uniform_work_group_size: 1
    .uses_dynamic_stack: false
    .vgpr_count:     26
    .vgpr_spill_count: 0
    .wavefront_size: 32
  - .args:
      - .address_space:  global
        .offset:         0
        .size:           8
        .value_kind:     global_buffer
      - .offset:         8
        .size:           4
        .value_kind:     by_value
      - .offset:         12
        .size:           4
        .value_kind:     by_value
      - .offset:         16
        .size:           8
        .value_kind:     by_value
      - .offset:         24
        .size:           4
        .value_kind:     by_value
      - .offset:         32
        .size:           8
        .value_kind:     by_value
      - .address_space:  global
        .offset:         40
        .size:           8
        .value_kind:     global_buffer
      - .offset:         48
        .size:           8
        .value_kind:     by_value
      - .offset:         56
        .size:           8
        .value_kind:     by_value
      - .offset:         64
        .size:           4
        .value_kind:     by_value
      - .offset:         68
        .size:           4
        .value_kind:     by_value
      - .offset:         72
        .size:           4
        .value_kind:     hidden_block_count_x
      - .offset:         76
        .size:           4
        .value_kind:     hidden_block_count_y
      - .offset:         80
        .size:           4
        .value_kind:     hidden_block_count_z
      - .offset:         84
        .size:           2
        .value_kind:     hidden_group_size_x
      - .offset:         86
        .size:           2
        .value_kind:     hidden_group_size_y
      - .offset:         88
        .size:           2
        .value_kind:     hidden_group_size_z
      - .offset:         90
        .size:           2
        .value_kind:     hidden_remainder_x
      - .offset:         92
        .size:           2
        .value_kind:     hidden_remainder_y
      - .offset:         94
        .size:           2
        .value_kind:     hidden_remainder_z
      - .offset:         112
        .size:           8
        .value_kind:     hidden_global_offset_x
      - .offset:         120
        .size:           8
        .value_kind:     hidden_global_offset_y
      - .offset:         128
        .size:           8
        .value_kind:     hidden_global_offset_z
      - .offset:         136
        .size:           2
        .value_kind:     hidden_grid_dims
    .group_segment_fixed_size: 0
    .kernarg_segment_align: 8
    .kernarg_segment_size: 328
    .language:       OpenCL C
    .language_version:
      - 2
      - 0
    .max_flat_workgroup_size: 128
    .name:           _ZL18rocblas_trtri_fillILi128E19rocblas_complex_numIfEPS1_EvP15_rocblas_handle13rocblas_fill_ililT1_llii
    .private_segment_fixed_size: 0
    .sgpr_count:     51
    .sgpr_spill_count: 0
    .symbol:         _ZL18rocblas_trtri_fillILi128E19rocblas_complex_numIfEPS1_EvP15_rocblas_handle13rocblas_fill_ililT1_llii.kd
    .uniform_work_group_size: 1
    .uses_dynamic_stack: false
    .vgpr_count:     24
    .vgpr_spill_count: 0
    .wavefront_size: 32
  - .args:
      - .offset:         0
        .size:           4
        .value_kind:     by_value
      - .offset:         4
        .size:           4
        .value_kind:     by_value
      - .offset:         8
        .size:           4
        .value_kind:     by_value
      - .address_space:  global
        .offset:         16
        .size:           8
        .value_kind:     global_buffer
      - .offset:         24
        .size:           8
        .value_kind:     by_value
      - .offset:         32
        .size:           4
        .value_kind:     by_value
      - .offset:         40
        .size:           8
        .value_kind:     by_value
      - .offset:         48
        .size:           8
        .value_kind:     by_value
      - .address_space:  global
        .offset:         56
        .size:           8
        .value_kind:     global_buffer
      - .offset:         64
        .size:           8
        .value_kind:     by_value
      - .offset:         72
        .size:           4
        .value_kind:     by_value
      - .offset:         80
        .size:           8
        .value_kind:     by_value
      - .offset:         88
        .size:           8
        .value_kind:     by_value
      - .offset:         96
        .size:           4
        .value_kind:     by_value
    .group_segment_fixed_size: 2048
    .kernarg_segment_align: 8
    .kernarg_segment_size: 100
    .language:       OpenCL C
    .language_version:
      - 2
      - 0
    .max_flat_workgroup_size: 16
    .name:           _ZL26rocblas_trtri_small_kernelILi16E19rocblas_complex_numIfEPKS1_PS1_Ev13rocblas_fill_17rocblas_diagonal_iT1_lillT2_lilli
    .private_segment_fixed_size: 0
    .sgpr_count:     42
    .sgpr_spill_count: 0
    .symbol:         _ZL26rocblas_trtri_small_kernelILi16E19rocblas_complex_numIfEPKS1_PS1_Ev13rocblas_fill_17rocblas_diagonal_iT1_lillT2_lilli.kd
    .uniform_work_group_size: 1
    .uses_dynamic_stack: false
    .vgpr_count:     30
    .vgpr_spill_count: 0
    .wavefront_size: 32
  - .args:
      - .offset:         0
        .size:           4
        .value_kind:     by_value
      - .offset:         4
        .size:           4
        .value_kind:     by_value
      - .offset:         8
        .size:           4
        .value_kind:     by_value
      - .address_space:  global
        .offset:         16
        .size:           8
        .value_kind:     global_buffer
      - .offset:         24
        .size:           8
        .value_kind:     by_value
      - .offset:         32
        .size:           4
        .value_kind:     by_value
      - .offset:         40
        .size:           8
        .value_kind:     by_value
      - .offset:         48
        .size:           8
        .value_kind:     by_value
      - .address_space:  global
        .offset:         56
        .size:           8
        .value_kind:     global_buffer
      - .offset:         64
        .size:           8
        .value_kind:     by_value
      - .offset:         72
        .size:           4
        .value_kind:     by_value
      - .offset:         80
        .size:           8
        .value_kind:     by_value
      - .offset:         88
        .size:           8
        .value_kind:     by_value
      - .offset:         96
        .size:           4
        .value_kind:     by_value
    .group_segment_fixed_size: 8192
    .kernarg_segment_align: 8
    .kernarg_segment_size: 100
    .language:       OpenCL C
    .language_version:
      - 2
      - 0
    .max_flat_workgroup_size: 256
    .name:           _ZL29rocblas_trtri_diagonal_kernelILi16E19rocblas_complex_numIfEPKS1_PS1_Ev13rocblas_fill_17rocblas_diagonal_iT1_lillT2_lilli
    .private_segment_fixed_size: 0
    .sgpr_count:     55
    .sgpr_spill_count: 0
    .symbol:         _ZL29rocblas_trtri_diagonal_kernelILi16E19rocblas_complex_numIfEPKS1_PS1_Ev13rocblas_fill_17rocblas_diagonal_iT1_lillT2_lilli.kd
    .uniform_work_group_size: 1
    .uses_dynamic_stack: false
    .vgpr_count:     58
    .vgpr_spill_count: 0
    .wavefront_size: 32
  - .args:
      - .offset:         0
        .size:           4
        .value_kind:     by_value
      - .offset:         4
        .size:           4
        .value_kind:     by_value
      - .offset:         8
        .size:           4
        .value_kind:     by_value
      - .address_space:  global
        .offset:         16
        .size:           8
        .value_kind:     global_buffer
      - .offset:         24
        .size:           8
        .value_kind:     by_value
      - .offset:         32
        .size:           4
        .value_kind:     by_value
      - .offset:         40
        .size:           8
        .value_kind:     by_value
      - .offset:         48
        .size:           8
        .value_kind:     by_value
      - .address_space:  global
        .offset:         56
        .size:           8
        .value_kind:     global_buffer
      - .offset:         64
        .size:           8
        .value_kind:     by_value
      - .offset:         72
        .size:           4
        .value_kind:     by_value
      - .offset:         80
        .size:           8
        .value_kind:     by_value
      - .offset:         88
        .size:           8
        .value_kind:     by_value
      - .offset:         96
        .size:           4
        .value_kind:     by_value
    .group_segment_fixed_size: 8192
    .kernarg_segment_align: 8
    .kernarg_segment_size: 100
    .language:       OpenCL C
    .language_version:
      - 2
      - 0
    .max_flat_workgroup_size: 1024
    .name:           _ZL30rocblas_trtri_remainder_kernelILi16E19rocblas_complex_numIfEPKS1_PS1_Ev13rocblas_fill_17rocblas_diagonal_iT1_lillT2_lilli
    .private_segment_fixed_size: 0
    .sgpr_count:     42
    .sgpr_spill_count: 0
    .symbol:         _ZL30rocblas_trtri_remainder_kernelILi16E19rocblas_complex_numIfEPKS1_PS1_Ev13rocblas_fill_17rocblas_diagonal_iT1_lillT2_lilli.kd
    .uniform_work_group_size: 1
    .uses_dynamic_stack: false
    .vgpr_count:     30
    .vgpr_spill_count: 0
    .wavefront_size: 32
  - .args:
      - .address_space:  global
        .offset:         0
        .size:           8
        .value_kind:     global_buffer
      - .offset:         8
        .size:           4
        .value_kind:     by_value
      - .offset:         12
        .size:           4
        .value_kind:     by_value
      - .offset:         16
        .size:           8
        .value_kind:     by_value
      - .offset:         24
        .size:           4
        .value_kind:     by_value
      - .offset:         32
        .size:           8
        .value_kind:     by_value
      - .address_space:  global
        .offset:         40
        .size:           8
        .value_kind:     global_buffer
      - .offset:         48
        .size:           8
        .value_kind:     by_value
      - .offset:         56
        .size:           8
        .value_kind:     by_value
      - .offset:         64
        .size:           4
        .value_kind:     by_value
      - .offset:         68
        .size:           4
        .value_kind:     by_value
      - .offset:         72
        .size:           4
        .value_kind:     hidden_block_count_x
      - .offset:         76
        .size:           4
        .value_kind:     hidden_block_count_y
      - .offset:         80
        .size:           4
        .value_kind:     hidden_block_count_z
      - .offset:         84
        .size:           2
        .value_kind:     hidden_group_size_x
      - .offset:         86
        .size:           2
        .value_kind:     hidden_group_size_y
      - .offset:         88
        .size:           2
        .value_kind:     hidden_group_size_z
      - .offset:         90
        .size:           2
        .value_kind:     hidden_remainder_x
      - .offset:         92
        .size:           2
        .value_kind:     hidden_remainder_y
      - .offset:         94
        .size:           2
        .value_kind:     hidden_remainder_z
      - .offset:         112
        .size:           8
        .value_kind:     hidden_global_offset_x
      - .offset:         120
        .size:           8
        .value_kind:     hidden_global_offset_y
      - .offset:         128
        .size:           8
        .value_kind:     hidden_global_offset_z
      - .offset:         136
        .size:           2
        .value_kind:     hidden_grid_dims
    .group_segment_fixed_size: 0
    .kernarg_segment_align: 8
    .kernarg_segment_size: 328
    .language:       OpenCL C
    .language_version:
      - 2
      - 0
    .max_flat_workgroup_size: 128
    .name:           _ZL18rocblas_trtri_fillILi128E19rocblas_complex_numIdEPS1_EvP15_rocblas_handle13rocblas_fill_ililT1_llii
    .private_segment_fixed_size: 0
    .sgpr_count:     51
    .sgpr_spill_count: 0
    .symbol:         _ZL18rocblas_trtri_fillILi128E19rocblas_complex_numIdEPS1_EvP15_rocblas_handle13rocblas_fill_ililT1_llii.kd
    .uniform_work_group_size: 1
    .uses_dynamic_stack: false
    .vgpr_count:     26
    .vgpr_spill_count: 0
    .wavefront_size: 32
  - .args:
      - .offset:         0
        .size:           4
        .value_kind:     by_value
      - .offset:         4
        .size:           4
        .value_kind:     by_value
      - .offset:         8
        .size:           4
        .value_kind:     by_value
      - .address_space:  global
        .offset:         16
        .size:           8
        .value_kind:     global_buffer
      - .offset:         24
        .size:           8
        .value_kind:     by_value
      - .offset:         32
        .size:           4
        .value_kind:     by_value
      - .offset:         40
        .size:           8
        .value_kind:     by_value
      - .offset:         48
        .size:           8
        .value_kind:     by_value
      - .address_space:  global
        .offset:         56
        .size:           8
        .value_kind:     global_buffer
      - .offset:         64
        .size:           8
        .value_kind:     by_value
      - .offset:         72
        .size:           4
        .value_kind:     by_value
      - .offset:         80
        .size:           8
        .value_kind:     by_value
      - .offset:         88
        .size:           8
        .value_kind:     by_value
      - .offset:         96
        .size:           4
        .value_kind:     by_value
    .group_segment_fixed_size: 4096
    .kernarg_segment_align: 8
    .kernarg_segment_size: 100
    .language:       OpenCL C
    .language_version:
      - 2
      - 0
    .max_flat_workgroup_size: 16
    .name:           _ZL26rocblas_trtri_small_kernelILi16E19rocblas_complex_numIdEPKS1_PS1_Ev13rocblas_fill_17rocblas_diagonal_iT1_lillT2_lilli
    .private_segment_fixed_size: 0
    .sgpr_count:     42
    .sgpr_spill_count: 0
    .symbol:         _ZL26rocblas_trtri_small_kernelILi16E19rocblas_complex_numIdEPKS1_PS1_Ev13rocblas_fill_17rocblas_diagonal_iT1_lillT2_lilli.kd
    .uniform_work_group_size: 1
    .uses_dynamic_stack: false
    .vgpr_count:     34
    .vgpr_spill_count: 0
    .wavefront_size: 32
  - .args:
      - .offset:         0
        .size:           4
        .value_kind:     by_value
      - .offset:         4
        .size:           4
        .value_kind:     by_value
      - .offset:         8
        .size:           4
        .value_kind:     by_value
      - .address_space:  global
        .offset:         16
        .size:           8
        .value_kind:     global_buffer
      - .offset:         24
        .size:           8
        .value_kind:     by_value
      - .offset:         32
        .size:           4
        .value_kind:     by_value
      - .offset:         40
        .size:           8
        .value_kind:     by_value
      - .offset:         48
        .size:           8
        .value_kind:     by_value
      - .address_space:  global
        .offset:         56
        .size:           8
        .value_kind:     global_buffer
      - .offset:         64
        .size:           8
        .value_kind:     by_value
      - .offset:         72
        .size:           4
        .value_kind:     by_value
      - .offset:         80
        .size:           8
        .value_kind:     by_value
      - .offset:         88
        .size:           8
        .value_kind:     by_value
      - .offset:         96
        .size:           4
        .value_kind:     by_value
    .group_segment_fixed_size: 16384
    .kernarg_segment_align: 8
    .kernarg_segment_size: 100
    .language:       OpenCL C
    .language_version:
      - 2
      - 0
    .max_flat_workgroup_size: 256
    .name:           _ZL29rocblas_trtri_diagonal_kernelILi16E19rocblas_complex_numIdEPKS1_PS1_Ev13rocblas_fill_17rocblas_diagonal_iT1_lillT2_lilli
    .private_segment_fixed_size: 0
    .sgpr_count:     55
    .sgpr_spill_count: 0
    .symbol:         _ZL29rocblas_trtri_diagonal_kernelILi16E19rocblas_complex_numIdEPKS1_PS1_Ev13rocblas_fill_17rocblas_diagonal_iT1_lillT2_lilli.kd
    .uniform_work_group_size: 1
    .uses_dynamic_stack: false
    .vgpr_count:     60
    .vgpr_spill_count: 0
    .wavefront_size: 32
  - .args:
      - .offset:         0
        .size:           4
        .value_kind:     by_value
      - .offset:         4
        .size:           4
        .value_kind:     by_value
      - .offset:         8
        .size:           4
        .value_kind:     by_value
      - .address_space:  global
        .offset:         16
        .size:           8
        .value_kind:     global_buffer
      - .offset:         24
        .size:           8
        .value_kind:     by_value
      - .offset:         32
        .size:           4
        .value_kind:     by_value
      - .offset:         40
        .size:           8
        .value_kind:     by_value
      - .offset:         48
        .size:           8
        .value_kind:     by_value
      - .address_space:  global
        .offset:         56
        .size:           8
        .value_kind:     global_buffer
      - .offset:         64
        .size:           8
        .value_kind:     by_value
      - .offset:         72
        .size:           4
        .value_kind:     by_value
      - .offset:         80
        .size:           8
        .value_kind:     by_value
      - .offset:         88
        .size:           8
        .value_kind:     by_value
      - .offset:         96
        .size:           4
        .value_kind:     by_value
    .group_segment_fixed_size: 16384
    .kernarg_segment_align: 8
    .kernarg_segment_size: 100
    .language:       OpenCL C
    .language_version:
      - 2
      - 0
    .max_flat_workgroup_size: 1024
    .name:           _ZL30rocblas_trtri_remainder_kernelILi16E19rocblas_complex_numIdEPKS1_PS1_Ev13rocblas_fill_17rocblas_diagonal_iT1_lillT2_lilli
    .private_segment_fixed_size: 0
    .sgpr_count:     42
    .sgpr_spill_count: 0
    .symbol:         _ZL30rocblas_trtri_remainder_kernelILi16E19rocblas_complex_numIdEPKS1_PS1_Ev13rocblas_fill_17rocblas_diagonal_iT1_lillT2_lilli.kd
    .uniform_work_group_size: 1
    .uses_dynamic_stack: false
    .vgpr_count:     34
    .vgpr_spill_count: 0
    .wavefront_size: 32
  - .args:
      - .address_space:  global
        .offset:         0
        .size:           8
        .value_kind:     global_buffer
      - .offset:         8
        .size:           4
        .value_kind:     by_value
      - .offset:         12
        .size:           4
        .value_kind:     by_value
      - .offset:         16
        .size:           8
        .value_kind:     by_value
      - .offset:         24
        .size:           4
        .value_kind:     by_value
      - .offset:         32
        .size:           8
        .value_kind:     by_value
      - .address_space:  global
        .offset:         40
        .size:           8
        .value_kind:     global_buffer
      - .offset:         48
        .size:           8
        .value_kind:     by_value
      - .offset:         56
        .size:           8
        .value_kind:     by_value
      - .offset:         64
        .size:           4
        .value_kind:     by_value
      - .offset:         68
        .size:           4
        .value_kind:     by_value
      - .offset:         72
        .size:           4
        .value_kind:     hidden_block_count_x
      - .offset:         76
        .size:           4
        .value_kind:     hidden_block_count_y
      - .offset:         80
        .size:           4
        .value_kind:     hidden_block_count_z
      - .offset:         84
        .size:           2
        .value_kind:     hidden_group_size_x
      - .offset:         86
        .size:           2
        .value_kind:     hidden_group_size_y
      - .offset:         88
        .size:           2
        .value_kind:     hidden_group_size_z
      - .offset:         90
        .size:           2
        .value_kind:     hidden_remainder_x
      - .offset:         92
        .size:           2
        .value_kind:     hidden_remainder_y
      - .offset:         94
        .size:           2
        .value_kind:     hidden_remainder_z
      - .offset:         112
        .size:           8
        .value_kind:     hidden_global_offset_x
      - .offset:         120
        .size:           8
        .value_kind:     hidden_global_offset_y
      - .offset:         128
        .size:           8
        .value_kind:     hidden_global_offset_z
      - .offset:         136
        .size:           2
        .value_kind:     hidden_grid_dims
    .group_segment_fixed_size: 0
    .kernarg_segment_align: 8
    .kernarg_segment_size: 328
    .language:       OpenCL C
    .language_version:
      - 2
      - 0
    .max_flat_workgroup_size: 128
    .name:           _ZL18rocblas_trtri_fillILi128EfPKPfEvP15_rocblas_handle13rocblas_fill_ililT1_llii
    .private_segment_fixed_size: 0
    .sgpr_count:     51
    .sgpr_spill_count: 0
    .symbol:         _ZL18rocblas_trtri_fillILi128EfPKPfEvP15_rocblas_handle13rocblas_fill_ililT1_llii.kd
    .uniform_work_group_size: 1
    .uses_dynamic_stack: false
    .vgpr_count:     24
    .vgpr_spill_count: 0
    .wavefront_size: 32
  - .args:
      - .offset:         0
        .size:           4
        .value_kind:     by_value
      - .offset:         4
        .size:           4
        .value_kind:     by_value
      - .offset:         8
        .size:           4
        .value_kind:     by_value
      - .address_space:  global
        .offset:         16
        .size:           8
        .value_kind:     global_buffer
      - .offset:         24
        .size:           8
        .value_kind:     by_value
      - .offset:         32
        .size:           4
        .value_kind:     by_value
      - .offset:         40
        .size:           8
        .value_kind:     by_value
      - .offset:         48
        .size:           8
        .value_kind:     by_value
      - .address_space:  global
        .offset:         56
        .size:           8
        .value_kind:     global_buffer
      - .offset:         64
        .size:           8
        .value_kind:     by_value
      - .offset:         72
        .size:           4
        .value_kind:     by_value
      - .offset:         80
        .size:           8
        .value_kind:     by_value
      - .offset:         88
        .size:           8
        .value_kind:     by_value
      - .offset:         96
        .size:           4
        .value_kind:     by_value
    .group_segment_fixed_size: 1024
    .kernarg_segment_align: 8
    .kernarg_segment_size: 100
    .language:       OpenCL C
    .language_version:
      - 2
      - 0
    .max_flat_workgroup_size: 16
    .name:           _ZL26rocblas_trtri_small_kernelILi16EfPKPKfPKPfEv13rocblas_fill_17rocblas_diagonal_iT1_lillT2_lilli
    .private_segment_fixed_size: 0
    .sgpr_count:     39
    .sgpr_spill_count: 0
    .symbol:         _ZL26rocblas_trtri_small_kernelILi16EfPKPKfPKPfEv13rocblas_fill_17rocblas_diagonal_iT1_lillT2_lilli.kd
    .uniform_work_group_size: 1
    .uses_dynamic_stack: false
    .vgpr_count:     20
    .vgpr_spill_count: 0
    .wavefront_size: 32
  - .args:
      - .offset:         0
        .size:           4
        .value_kind:     by_value
      - .offset:         4
        .size:           4
        .value_kind:     by_value
      - .offset:         8
        .size:           4
        .value_kind:     by_value
      - .address_space:  global
        .offset:         16
        .size:           8
        .value_kind:     global_buffer
      - .offset:         24
        .size:           8
        .value_kind:     by_value
      - .offset:         32
        .size:           4
        .value_kind:     by_value
      - .offset:         40
        .size:           8
        .value_kind:     by_value
      - .offset:         48
        .size:           8
        .value_kind:     by_value
      - .address_space:  global
        .offset:         56
        .size:           8
        .value_kind:     global_buffer
      - .offset:         64
        .size:           8
        .value_kind:     by_value
      - .offset:         72
        .size:           4
        .value_kind:     by_value
      - .offset:         80
        .size:           8
        .value_kind:     by_value
      - .offset:         88
        .size:           8
        .value_kind:     by_value
      - .offset:         96
        .size:           4
        .value_kind:     by_value
    .group_segment_fixed_size: 4096
    .kernarg_segment_align: 8
    .kernarg_segment_size: 100
    .language:       OpenCL C
    .language_version:
      - 2
      - 0
    .max_flat_workgroup_size: 256
    .name:           _ZL29rocblas_trtri_diagonal_kernelILi16EfPKPKfPKPfEv13rocblas_fill_17rocblas_diagonal_iT1_lillT2_lilli
    .private_segment_fixed_size: 0
    .sgpr_count:     52
    .sgpr_spill_count: 0
    .symbol:         _ZL29rocblas_trtri_diagonal_kernelILi16EfPKPKfPKPfEv13rocblas_fill_17rocblas_diagonal_iT1_lillT2_lilli.kd
    .uniform_work_group_size: 1
    .uses_dynamic_stack: false
    .vgpr_count:     51
    .vgpr_spill_count: 0
    .wavefront_size: 32
  - .args:
      - .offset:         0
        .size:           4
        .value_kind:     by_value
      - .offset:         4
        .size:           4
        .value_kind:     by_value
      - .offset:         8
        .size:           4
        .value_kind:     by_value
      - .address_space:  global
        .offset:         16
        .size:           8
        .value_kind:     global_buffer
      - .offset:         24
        .size:           8
        .value_kind:     by_value
      - .offset:         32
        .size:           4
        .value_kind:     by_value
      - .offset:         40
        .size:           8
        .value_kind:     by_value
      - .offset:         48
        .size:           8
        .value_kind:     by_value
      - .address_space:  global
        .offset:         56
        .size:           8
        .value_kind:     global_buffer
      - .offset:         64
        .size:           8
        .value_kind:     by_value
      - .offset:         72
        .size:           4
        .value_kind:     by_value
      - .offset:         80
        .size:           8
        .value_kind:     by_value
      - .offset:         88
        .size:           8
        .value_kind:     by_value
      - .offset:         96
        .size:           4
        .value_kind:     by_value
    .group_segment_fixed_size: 4096
    .kernarg_segment_align: 8
    .kernarg_segment_size: 100
    .language:       OpenCL C
    .language_version:
      - 2
      - 0
    .max_flat_workgroup_size: 1024
    .name:           _ZL30rocblas_trtri_remainder_kernelILi16EfPKPKfPKPfEv13rocblas_fill_17rocblas_diagonal_iT1_lillT2_lilli
    .private_segment_fixed_size: 0
    .sgpr_count:     39
    .sgpr_spill_count: 0
    .symbol:         _ZL30rocblas_trtri_remainder_kernelILi16EfPKPKfPKPfEv13rocblas_fill_17rocblas_diagonal_iT1_lillT2_lilli.kd
    .uniform_work_group_size: 1
    .uses_dynamic_stack: false
    .vgpr_count:     20
    .vgpr_spill_count: 0
    .wavefront_size: 32
  - .args:
      - .address_space:  global
        .offset:         0
        .size:           8
        .value_kind:     global_buffer
      - .offset:         8
        .size:           4
        .value_kind:     by_value
      - .offset:         12
        .size:           4
        .value_kind:     by_value
      - .offset:         16
        .size:           8
        .value_kind:     by_value
      - .offset:         24
        .size:           4
        .value_kind:     by_value
      - .offset:         32
        .size:           8
        .value_kind:     by_value
      - .address_space:  global
        .offset:         40
        .size:           8
        .value_kind:     global_buffer
      - .offset:         48
        .size:           8
        .value_kind:     by_value
      - .offset:         56
        .size:           8
        .value_kind:     by_value
      - .offset:         64
        .size:           4
        .value_kind:     by_value
      - .offset:         68
        .size:           4
        .value_kind:     by_value
      - .offset:         72
        .size:           4
        .value_kind:     hidden_block_count_x
      - .offset:         76
        .size:           4
        .value_kind:     hidden_block_count_y
      - .offset:         80
        .size:           4
        .value_kind:     hidden_block_count_z
      - .offset:         84
        .size:           2
        .value_kind:     hidden_group_size_x
      - .offset:         86
        .size:           2
        .value_kind:     hidden_group_size_y
      - .offset:         88
        .size:           2
        .value_kind:     hidden_group_size_z
      - .offset:         90
        .size:           2
        .value_kind:     hidden_remainder_x
      - .offset:         92
        .size:           2
        .value_kind:     hidden_remainder_y
      - .offset:         94
        .size:           2
        .value_kind:     hidden_remainder_z
      - .offset:         112
        .size:           8
        .value_kind:     hidden_global_offset_x
      - .offset:         120
        .size:           8
        .value_kind:     hidden_global_offset_y
      - .offset:         128
        .size:           8
        .value_kind:     hidden_global_offset_z
      - .offset:         136
        .size:           2
        .value_kind:     hidden_grid_dims
    .group_segment_fixed_size: 0
    .kernarg_segment_align: 8
    .kernarg_segment_size: 328
    .language:       OpenCL C
    .language_version:
      - 2
      - 0
    .max_flat_workgroup_size: 128
    .name:           _ZL18rocblas_trtri_fillILi128EdPKPdEvP15_rocblas_handle13rocblas_fill_ililT1_llii
    .private_segment_fixed_size: 0
    .sgpr_count:     51
    .sgpr_spill_count: 0
    .symbol:         _ZL18rocblas_trtri_fillILi128EdPKPdEvP15_rocblas_handle13rocblas_fill_ililT1_llii.kd
    .uniform_work_group_size: 1
    .uses_dynamic_stack: false
    .vgpr_count:     26
    .vgpr_spill_count: 0
    .wavefront_size: 32
  - .args:
      - .offset:         0
        .size:           4
        .value_kind:     by_value
      - .offset:         4
        .size:           4
        .value_kind:     by_value
      - .offset:         8
        .size:           4
        .value_kind:     by_value
      - .address_space:  global
        .offset:         16
        .size:           8
        .value_kind:     global_buffer
      - .offset:         24
        .size:           8
        .value_kind:     by_value
      - .offset:         32
        .size:           4
        .value_kind:     by_value
      - .offset:         40
        .size:           8
        .value_kind:     by_value
      - .offset:         48
        .size:           8
        .value_kind:     by_value
      - .address_space:  global
        .offset:         56
        .size:           8
        .value_kind:     global_buffer
      - .offset:         64
        .size:           8
        .value_kind:     by_value
      - .offset:         72
        .size:           4
        .value_kind:     by_value
      - .offset:         80
        .size:           8
        .value_kind:     by_value
      - .offset:         88
        .size:           8
        .value_kind:     by_value
      - .offset:         96
        .size:           4
        .value_kind:     by_value
    .group_segment_fixed_size: 2048
    .kernarg_segment_align: 8
    .kernarg_segment_size: 100
    .language:       OpenCL C
    .language_version:
      - 2
      - 0
    .max_flat_workgroup_size: 16
    .name:           _ZL26rocblas_trtri_small_kernelILi16EdPKPKdPKPdEv13rocblas_fill_17rocblas_diagonal_iT1_lillT2_lilli
    .private_segment_fixed_size: 0
    .sgpr_count:     39
    .sgpr_spill_count: 0
    .symbol:         _ZL26rocblas_trtri_small_kernelILi16EdPKPKdPKPdEv13rocblas_fill_17rocblas_diagonal_iT1_lillT2_lilli.kd
    .uniform_work_group_size: 1
    .uses_dynamic_stack: false
    .vgpr_count:     26
    .vgpr_spill_count: 0
    .wavefront_size: 32
  - .args:
      - .offset:         0
        .size:           4
        .value_kind:     by_value
      - .offset:         4
        .size:           4
        .value_kind:     by_value
      - .offset:         8
        .size:           4
        .value_kind:     by_value
      - .address_space:  global
        .offset:         16
        .size:           8
        .value_kind:     global_buffer
      - .offset:         24
        .size:           8
        .value_kind:     by_value
      - .offset:         32
        .size:           4
        .value_kind:     by_value
      - .offset:         40
        .size:           8
        .value_kind:     by_value
      - .offset:         48
        .size:           8
        .value_kind:     by_value
      - .address_space:  global
        .offset:         56
        .size:           8
        .value_kind:     global_buffer
      - .offset:         64
        .size:           8
        .value_kind:     by_value
      - .offset:         72
        .size:           4
        .value_kind:     by_value
      - .offset:         80
        .size:           8
        .value_kind:     by_value
      - .offset:         88
        .size:           8
        .value_kind:     by_value
      - .offset:         96
        .size:           4
        .value_kind:     by_value
    .group_segment_fixed_size: 8192
    .kernarg_segment_align: 8
    .kernarg_segment_size: 100
    .language:       OpenCL C
    .language_version:
      - 2
      - 0
    .max_flat_workgroup_size: 256
    .name:           _ZL29rocblas_trtri_diagonal_kernelILi16EdPKPKdPKPdEv13rocblas_fill_17rocblas_diagonal_iT1_lillT2_lilli
    .private_segment_fixed_size: 0
    .sgpr_count:     52
    .sgpr_spill_count: 0
    .symbol:         _ZL29rocblas_trtri_diagonal_kernelILi16EdPKPKdPKPdEv13rocblas_fill_17rocblas_diagonal_iT1_lillT2_lilli.kd
    .uniform_work_group_size: 1
    .uses_dynamic_stack: false
    .vgpr_count:     54
    .vgpr_spill_count: 0
    .wavefront_size: 32
  - .args:
      - .offset:         0
        .size:           4
        .value_kind:     by_value
      - .offset:         4
        .size:           4
        .value_kind:     by_value
      - .offset:         8
        .size:           4
        .value_kind:     by_value
      - .address_space:  global
        .offset:         16
        .size:           8
        .value_kind:     global_buffer
      - .offset:         24
        .size:           8
        .value_kind:     by_value
      - .offset:         32
        .size:           4
        .value_kind:     by_value
      - .offset:         40
        .size:           8
        .value_kind:     by_value
      - .offset:         48
        .size:           8
        .value_kind:     by_value
      - .address_space:  global
        .offset:         56
        .size:           8
        .value_kind:     global_buffer
      - .offset:         64
        .size:           8
        .value_kind:     by_value
      - .offset:         72
        .size:           4
        .value_kind:     by_value
      - .offset:         80
        .size:           8
        .value_kind:     by_value
      - .offset:         88
        .size:           8
        .value_kind:     by_value
      - .offset:         96
        .size:           4
        .value_kind:     by_value
    .group_segment_fixed_size: 8192
    .kernarg_segment_align: 8
    .kernarg_segment_size: 100
    .language:       OpenCL C
    .language_version:
      - 2
      - 0
    .max_flat_workgroup_size: 1024
    .name:           _ZL30rocblas_trtri_remainder_kernelILi16EdPKPKdPKPdEv13rocblas_fill_17rocblas_diagonal_iT1_lillT2_lilli
    .private_segment_fixed_size: 0
    .sgpr_count:     39
    .sgpr_spill_count: 0
    .symbol:         _ZL30rocblas_trtri_remainder_kernelILi16EdPKPKdPKPdEv13rocblas_fill_17rocblas_diagonal_iT1_lillT2_lilli.kd
    .uniform_work_group_size: 1
    .uses_dynamic_stack: false
    .vgpr_count:     26
    .vgpr_spill_count: 0
    .wavefront_size: 32
  - .args:
      - .address_space:  global
        .offset:         0
        .size:           8
        .value_kind:     global_buffer
      - .offset:         8
        .size:           4
        .value_kind:     by_value
      - .offset:         12
        .size:           4
        .value_kind:     by_value
      - .offset:         16
        .size:           8
        .value_kind:     by_value
      - .offset:         24
        .size:           4
        .value_kind:     by_value
      - .offset:         32
        .size:           8
        .value_kind:     by_value
      - .address_space:  global
        .offset:         40
        .size:           8
        .value_kind:     global_buffer
      - .offset:         48
        .size:           8
        .value_kind:     by_value
      - .offset:         56
        .size:           8
        .value_kind:     by_value
      - .offset:         64
        .size:           4
        .value_kind:     by_value
      - .offset:         68
        .size:           4
        .value_kind:     by_value
      - .offset:         72
        .size:           4
        .value_kind:     hidden_block_count_x
      - .offset:         76
        .size:           4
        .value_kind:     hidden_block_count_y
      - .offset:         80
        .size:           4
        .value_kind:     hidden_block_count_z
      - .offset:         84
        .size:           2
        .value_kind:     hidden_group_size_x
      - .offset:         86
        .size:           2
        .value_kind:     hidden_group_size_y
      - .offset:         88
        .size:           2
        .value_kind:     hidden_group_size_z
      - .offset:         90
        .size:           2
        .value_kind:     hidden_remainder_x
      - .offset:         92
        .size:           2
        .value_kind:     hidden_remainder_y
      - .offset:         94
        .size:           2
        .value_kind:     hidden_remainder_z
      - .offset:         112
        .size:           8
        .value_kind:     hidden_global_offset_x
      - .offset:         120
        .size:           8
        .value_kind:     hidden_global_offset_y
      - .offset:         128
        .size:           8
        .value_kind:     hidden_global_offset_z
      - .offset:         136
        .size:           2
        .value_kind:     hidden_grid_dims
    .group_segment_fixed_size: 0
    .kernarg_segment_align: 8
    .kernarg_segment_size: 328
    .language:       OpenCL C
    .language_version:
      - 2
      - 0
    .max_flat_workgroup_size: 128
    .name:           _ZL18rocblas_trtri_fillILi128E19rocblas_complex_numIfEPKPS1_EvP15_rocblas_handle13rocblas_fill_ililT1_llii
    .private_segment_fixed_size: 0
    .sgpr_count:     51
    .sgpr_spill_count: 0
    .symbol:         _ZL18rocblas_trtri_fillILi128E19rocblas_complex_numIfEPKPS1_EvP15_rocblas_handle13rocblas_fill_ililT1_llii.kd
    .uniform_work_group_size: 1
    .uses_dynamic_stack: false
    .vgpr_count:     24
    .vgpr_spill_count: 0
    .wavefront_size: 32
  - .args:
      - .offset:         0
        .size:           4
        .value_kind:     by_value
      - .offset:         4
        .size:           4
        .value_kind:     by_value
      - .offset:         8
        .size:           4
        .value_kind:     by_value
      - .address_space:  global
        .offset:         16
        .size:           8
        .value_kind:     global_buffer
      - .offset:         24
        .size:           8
        .value_kind:     by_value
      - .offset:         32
        .size:           4
        .value_kind:     by_value
      - .offset:         40
        .size:           8
        .value_kind:     by_value
      - .offset:         48
        .size:           8
        .value_kind:     by_value
      - .address_space:  global
        .offset:         56
        .size:           8
        .value_kind:     global_buffer
      - .offset:         64
        .size:           8
        .value_kind:     by_value
      - .offset:         72
        .size:           4
        .value_kind:     by_value
      - .offset:         80
        .size:           8
        .value_kind:     by_value
      - .offset:         88
        .size:           8
        .value_kind:     by_value
      - .offset:         96
        .size:           4
        .value_kind:     by_value
    .group_segment_fixed_size: 2048
    .kernarg_segment_align: 8
    .kernarg_segment_size: 100
    .language:       OpenCL C
    .language_version:
      - 2
      - 0
    .max_flat_workgroup_size: 16
    .name:           _ZL26rocblas_trtri_small_kernelILi16E19rocblas_complex_numIfEPKPKS1_PKPS1_Ev13rocblas_fill_17rocblas_diagonal_iT1_lillT2_lilli
    .private_segment_fixed_size: 0
    .sgpr_count:     39
    .sgpr_spill_count: 0
    .symbol:         _ZL26rocblas_trtri_small_kernelILi16E19rocblas_complex_numIfEPKPKS1_PKPS1_Ev13rocblas_fill_17rocblas_diagonal_iT1_lillT2_lilli.kd
    .uniform_work_group_size: 1
    .uses_dynamic_stack: false
    .vgpr_count:     30
    .vgpr_spill_count: 0
    .wavefront_size: 32
  - .args:
      - .offset:         0
        .size:           4
        .value_kind:     by_value
      - .offset:         4
        .size:           4
        .value_kind:     by_value
      - .offset:         8
        .size:           4
        .value_kind:     by_value
      - .address_space:  global
        .offset:         16
        .size:           8
        .value_kind:     global_buffer
      - .offset:         24
        .size:           8
        .value_kind:     by_value
      - .offset:         32
        .size:           4
        .value_kind:     by_value
      - .offset:         40
        .size:           8
        .value_kind:     by_value
      - .offset:         48
        .size:           8
        .value_kind:     by_value
      - .address_space:  global
        .offset:         56
        .size:           8
        .value_kind:     global_buffer
      - .offset:         64
        .size:           8
        .value_kind:     by_value
      - .offset:         72
        .size:           4
        .value_kind:     by_value
      - .offset:         80
        .size:           8
        .value_kind:     by_value
      - .offset:         88
        .size:           8
        .value_kind:     by_value
      - .offset:         96
        .size:           4
        .value_kind:     by_value
    .group_segment_fixed_size: 8192
    .kernarg_segment_align: 8
    .kernarg_segment_size: 100
    .language:       OpenCL C
    .language_version:
      - 2
      - 0
    .max_flat_workgroup_size: 256
    .name:           _ZL29rocblas_trtri_diagonal_kernelILi16E19rocblas_complex_numIfEPKPKS1_PKPS1_Ev13rocblas_fill_17rocblas_diagonal_iT1_lillT2_lilli
    .private_segment_fixed_size: 0
    .sgpr_count:     52
    .sgpr_spill_count: 0
    .symbol:         _ZL29rocblas_trtri_diagonal_kernelILi16E19rocblas_complex_numIfEPKPKS1_PKPS1_Ev13rocblas_fill_17rocblas_diagonal_iT1_lillT2_lilli.kd
    .uniform_work_group_size: 1
    .uses_dynamic_stack: false
    .vgpr_count:     60
    .vgpr_spill_count: 0
    .wavefront_size: 32
  - .args:
      - .offset:         0
        .size:           4
        .value_kind:     by_value
      - .offset:         4
        .size:           4
        .value_kind:     by_value
      - .offset:         8
        .size:           4
        .value_kind:     by_value
      - .address_space:  global
        .offset:         16
        .size:           8
        .value_kind:     global_buffer
      - .offset:         24
        .size:           8
        .value_kind:     by_value
      - .offset:         32
        .size:           4
        .value_kind:     by_value
      - .offset:         40
        .size:           8
        .value_kind:     by_value
      - .offset:         48
        .size:           8
        .value_kind:     by_value
      - .address_space:  global
        .offset:         56
        .size:           8
        .value_kind:     global_buffer
      - .offset:         64
        .size:           8
        .value_kind:     by_value
      - .offset:         72
        .size:           4
        .value_kind:     by_value
      - .offset:         80
        .size:           8
        .value_kind:     by_value
      - .offset:         88
        .size:           8
        .value_kind:     by_value
      - .offset:         96
        .size:           4
        .value_kind:     by_value
    .group_segment_fixed_size: 8192
    .kernarg_segment_align: 8
    .kernarg_segment_size: 100
    .language:       OpenCL C
    .language_version:
      - 2
      - 0
    .max_flat_workgroup_size: 1024
    .name:           _ZL30rocblas_trtri_remainder_kernelILi16E19rocblas_complex_numIfEPKPKS1_PKPS1_Ev13rocblas_fill_17rocblas_diagonal_iT1_lillT2_lilli
    .private_segment_fixed_size: 0
    .sgpr_count:     39
    .sgpr_spill_count: 0
    .symbol:         _ZL30rocblas_trtri_remainder_kernelILi16E19rocblas_complex_numIfEPKPKS1_PKPS1_Ev13rocblas_fill_17rocblas_diagonal_iT1_lillT2_lilli.kd
    .uniform_work_group_size: 1
    .uses_dynamic_stack: false
    .vgpr_count:     30
    .vgpr_spill_count: 0
    .wavefront_size: 32
  - .args:
      - .address_space:  global
        .offset:         0
        .size:           8
        .value_kind:     global_buffer
      - .offset:         8
        .size:           4
        .value_kind:     by_value
      - .offset:         12
        .size:           4
        .value_kind:     by_value
      - .offset:         16
        .size:           8
        .value_kind:     by_value
      - .offset:         24
        .size:           4
        .value_kind:     by_value
      - .offset:         32
        .size:           8
        .value_kind:     by_value
      - .address_space:  global
        .offset:         40
        .size:           8
        .value_kind:     global_buffer
      - .offset:         48
        .size:           8
        .value_kind:     by_value
      - .offset:         56
        .size:           8
        .value_kind:     by_value
      - .offset:         64
        .size:           4
        .value_kind:     by_value
      - .offset:         68
        .size:           4
        .value_kind:     by_value
      - .offset:         72
        .size:           4
        .value_kind:     hidden_block_count_x
      - .offset:         76
        .size:           4
        .value_kind:     hidden_block_count_y
      - .offset:         80
        .size:           4
        .value_kind:     hidden_block_count_z
      - .offset:         84
        .size:           2
        .value_kind:     hidden_group_size_x
      - .offset:         86
        .size:           2
        .value_kind:     hidden_group_size_y
      - .offset:         88
        .size:           2
        .value_kind:     hidden_group_size_z
      - .offset:         90
        .size:           2
        .value_kind:     hidden_remainder_x
      - .offset:         92
        .size:           2
        .value_kind:     hidden_remainder_y
      - .offset:         94
        .size:           2
        .value_kind:     hidden_remainder_z
      - .offset:         112
        .size:           8
        .value_kind:     hidden_global_offset_x
      - .offset:         120
        .size:           8
        .value_kind:     hidden_global_offset_y
      - .offset:         128
        .size:           8
        .value_kind:     hidden_global_offset_z
      - .offset:         136
        .size:           2
        .value_kind:     hidden_grid_dims
    .group_segment_fixed_size: 0
    .kernarg_segment_align: 8
    .kernarg_segment_size: 328
    .language:       OpenCL C
    .language_version:
      - 2
      - 0
    .max_flat_workgroup_size: 128
    .name:           _ZL18rocblas_trtri_fillILi128E19rocblas_complex_numIdEPKPS1_EvP15_rocblas_handle13rocblas_fill_ililT1_llii
    .private_segment_fixed_size: 0
    .sgpr_count:     51
    .sgpr_spill_count: 0
    .symbol:         _ZL18rocblas_trtri_fillILi128E19rocblas_complex_numIdEPKPS1_EvP15_rocblas_handle13rocblas_fill_ililT1_llii.kd
    .uniform_work_group_size: 1
    .uses_dynamic_stack: false
    .vgpr_count:     26
    .vgpr_spill_count: 0
    .wavefront_size: 32
  - .args:
      - .offset:         0
        .size:           4
        .value_kind:     by_value
      - .offset:         4
        .size:           4
        .value_kind:     by_value
      - .offset:         8
        .size:           4
        .value_kind:     by_value
      - .address_space:  global
        .offset:         16
        .size:           8
        .value_kind:     global_buffer
      - .offset:         24
        .size:           8
        .value_kind:     by_value
      - .offset:         32
        .size:           4
        .value_kind:     by_value
      - .offset:         40
        .size:           8
        .value_kind:     by_value
      - .offset:         48
        .size:           8
        .value_kind:     by_value
      - .address_space:  global
        .offset:         56
        .size:           8
        .value_kind:     global_buffer
      - .offset:         64
        .size:           8
        .value_kind:     by_value
      - .offset:         72
        .size:           4
        .value_kind:     by_value
      - .offset:         80
        .size:           8
        .value_kind:     by_value
      - .offset:         88
        .size:           8
        .value_kind:     by_value
      - .offset:         96
        .size:           4
        .value_kind:     by_value
    .group_segment_fixed_size: 4096
    .kernarg_segment_align: 8
    .kernarg_segment_size: 100
    .language:       OpenCL C
    .language_version:
      - 2
      - 0
    .max_flat_workgroup_size: 16
    .name:           _ZL26rocblas_trtri_small_kernelILi16E19rocblas_complex_numIdEPKPKS1_PKPS1_Ev13rocblas_fill_17rocblas_diagonal_iT1_lillT2_lilli
    .private_segment_fixed_size: 0
    .sgpr_count:     39
    .sgpr_spill_count: 0
    .symbol:         _ZL26rocblas_trtri_small_kernelILi16E19rocblas_complex_numIdEPKPKS1_PKPS1_Ev13rocblas_fill_17rocblas_diagonal_iT1_lillT2_lilli.kd
    .uniform_work_group_size: 1
    .uses_dynamic_stack: false
    .vgpr_count:     34
    .vgpr_spill_count: 0
    .wavefront_size: 32
  - .args:
      - .offset:         0
        .size:           4
        .value_kind:     by_value
      - .offset:         4
        .size:           4
        .value_kind:     by_value
      - .offset:         8
        .size:           4
        .value_kind:     by_value
      - .address_space:  global
        .offset:         16
        .size:           8
        .value_kind:     global_buffer
      - .offset:         24
        .size:           8
        .value_kind:     by_value
      - .offset:         32
        .size:           4
        .value_kind:     by_value
      - .offset:         40
        .size:           8
        .value_kind:     by_value
      - .offset:         48
        .size:           8
        .value_kind:     by_value
      - .address_space:  global
        .offset:         56
        .size:           8
        .value_kind:     global_buffer
      - .offset:         64
        .size:           8
        .value_kind:     by_value
      - .offset:         72
        .size:           4
        .value_kind:     by_value
      - .offset:         80
        .size:           8
        .value_kind:     by_value
      - .offset:         88
        .size:           8
        .value_kind:     by_value
      - .offset:         96
        .size:           4
        .value_kind:     by_value
    .group_segment_fixed_size: 16384
    .kernarg_segment_align: 8
    .kernarg_segment_size: 100
    .language:       OpenCL C
    .language_version:
      - 2
      - 0
    .max_flat_workgroup_size: 256
    .name:           _ZL29rocblas_trtri_diagonal_kernelILi16E19rocblas_complex_numIdEPKPKS1_PKPS1_Ev13rocblas_fill_17rocblas_diagonal_iT1_lillT2_lilli
    .private_segment_fixed_size: 0
    .sgpr_count:     52
    .sgpr_spill_count: 0
    .symbol:         _ZL29rocblas_trtri_diagonal_kernelILi16E19rocblas_complex_numIdEPKPKS1_PKPS1_Ev13rocblas_fill_17rocblas_diagonal_iT1_lillT2_lilli.kd
    .uniform_work_group_size: 1
    .uses_dynamic_stack: false
    .vgpr_count:     60
    .vgpr_spill_count: 0
    .wavefront_size: 32
  - .args:
      - .offset:         0
        .size:           4
        .value_kind:     by_value
      - .offset:         4
        .size:           4
        .value_kind:     by_value
      - .offset:         8
        .size:           4
        .value_kind:     by_value
      - .address_space:  global
        .offset:         16
        .size:           8
        .value_kind:     global_buffer
      - .offset:         24
        .size:           8
        .value_kind:     by_value
      - .offset:         32
        .size:           4
        .value_kind:     by_value
      - .offset:         40
        .size:           8
        .value_kind:     by_value
      - .offset:         48
        .size:           8
        .value_kind:     by_value
      - .address_space:  global
        .offset:         56
        .size:           8
        .value_kind:     global_buffer
      - .offset:         64
        .size:           8
        .value_kind:     by_value
      - .offset:         72
        .size:           4
        .value_kind:     by_value
      - .offset:         80
        .size:           8
        .value_kind:     by_value
      - .offset:         88
        .size:           8
        .value_kind:     by_value
      - .offset:         96
        .size:           4
        .value_kind:     by_value
    .group_segment_fixed_size: 16384
    .kernarg_segment_align: 8
    .kernarg_segment_size: 100
    .language:       OpenCL C
    .language_version:
      - 2
      - 0
    .max_flat_workgroup_size: 1024
    .name:           _ZL30rocblas_trtri_remainder_kernelILi16E19rocblas_complex_numIdEPKPKS1_PKPS1_Ev13rocblas_fill_17rocblas_diagonal_iT1_lillT2_lilli
    .private_segment_fixed_size: 0
    .sgpr_count:     39
    .sgpr_spill_count: 0
    .symbol:         _ZL30rocblas_trtri_remainder_kernelILi16E19rocblas_complex_numIdEPKPKS1_PKPS1_Ev13rocblas_fill_17rocblas_diagonal_iT1_lillT2_lilli.kd
    .uniform_work_group_size: 1
    .uses_dynamic_stack: false
    .vgpr_count:     34
    .vgpr_spill_count: 0
    .wavefront_size: 32
amdhsa.target:   amdgcn-amd-amdhsa--gfx1250
amdhsa.version:
  - 1
  - 2
...

	.end_amdgpu_metadata
